;; amdgpu-corpus repo=ROCm/rocFFT kind=compiled arch=gfx1030 opt=O3
	.text
	.amdgcn_target "amdgcn-amd-amdhsa--gfx1030"
	.amdhsa_code_object_version 6
	.protected	bluestein_single_fwd_len1372_dim1_half_op_CI_CI ; -- Begin function bluestein_single_fwd_len1372_dim1_half_op_CI_CI
	.globl	bluestein_single_fwd_len1372_dim1_half_op_CI_CI
	.p2align	8
	.type	bluestein_single_fwd_len1372_dim1_half_op_CI_CI,@function
bluestein_single_fwd_len1372_dim1_half_op_CI_CI: ; @bluestein_single_fwd_len1372_dim1_half_op_CI_CI
; %bb.0:
	s_load_dwordx4 s[12:15], s[4:5], 0x28
	v_mul_u32_u24_e32 v1, 0x29d, v0
	v_mov_b32_e32 v25, 0
	s_mov_b32 s0, exec_lo
	v_lshrrev_b32_e32 v1, 16, v1
	v_lshl_add_u32 v24, s6, 1, v1
	s_waitcnt lgkmcnt(0)
	v_cmpx_gt_u64_e64 s[12:13], v[24:25]
	s_cbranch_execz .LBB0_2
; %bb.1:
	s_clause 0x1
	s_load_dwordx4 s[0:3], s[4:5], 0x18
	s_load_dwordx4 s[8:11], s[4:5], 0x0
	v_mul_lo_u16 v2, 0x62, v1
	s_load_dwordx2 s[4:5], s[4:5], 0x38
	s_mov_b32 s22, 0x515a4f1d
	s_mov_b32 s23, 0x3f47e225
	v_sub_nc_u16 v9, v0, v2
	v_and_b32_e32 v63, 0xffff, v9
	v_lshlrev_b32_e32 v13, 2, v63
	v_lshlrev_b32_e32 v31, 1, v63
	s_waitcnt lgkmcnt(0)
	s_load_dwordx4 s[16:19], s[0:1], 0x0
	s_clause 0x1
	global_load_dword v57, v13, s[8:9]
	global_load_dword v56, v13, s[8:9] offset:392
	v_add_co_u32 v70, s0, s8, v13
	v_add_co_ci_u32_e64 v74, null, s9, 0, s0
	v_add_co_u32 v6, vcc_lo, 0x800, v70
	v_add_co_ci_u32_e32 v7, vcc_lo, 0, v74, vcc_lo
	s_clause 0x1
	global_load_dword v58, v[6:7], off offset:696
	global_load_dword v59, v[6:7], off offset:1088
	s_waitcnt lgkmcnt(0)
	v_mad_u64_u32 v[2:3], null, s18, v24, 0
	v_mad_u64_u32 v[4:5], null, s16, v63, 0
	s_mul_i32 s0, s17, 0xab8
	s_mul_hi_u32 s1, s16, 0xab8
	s_mul_i32 s6, s16, 0xab8
	s_add_i32 s1, s1, s0
	v_mov_b32_e32 v0, v3
	s_mul_hi_u32 s12, s16, 0xfffff6d0
	v_mov_b32_e32 v3, v5
	s_mul_i32 s7, s17, 0xfffff6d0
	s_mul_i32 s13, s16, 0xfffff6d0
	v_mad_u64_u32 v[10:11], null, s19, v24, v[0:1]
	v_mad_u64_u32 v[11:12], null, s17, v63, v[3:4]
	s_sub_i32 s0, s12, s16
	s_add_i32 s0, s0, s7
	v_mov_b32_e32 v3, v10
	v_add_co_u32 v10, null, 0x62, v63
	v_mov_b32_e32 v5, v11
	v_lshlrev_b64 v[2:3], 2, v[2:3]
	v_lshlrev_b64 v[4:5], 2, v[4:5]
	v_add_co_u32 v0, vcc_lo, s14, v2
	v_add_co_ci_u32_e32 v3, vcc_lo, s15, v3, vcc_lo
	v_add_co_u32 v2, vcc_lo, v0, v4
	v_add_co_ci_u32_e32 v3, vcc_lo, v3, v5, vcc_lo
	v_and_b32_e32 v0, 1, v1
	v_add_co_u32 v4, vcc_lo, v2, s6
	v_add_co_ci_u32_e32 v5, vcc_lo, s1, v3, vcc_lo
	s_clause 0x1
	global_load_dword v11, v[2:3], off
	global_load_dword v12, v[4:5], off
	v_add_co_u32 v2, vcc_lo, v4, s13
	v_add_co_ci_u32_e32 v3, vcc_lo, s0, v5, vcc_lo
	v_add_co_u32 v4, vcc_lo, v2, s6
	v_add_co_ci_u32_e32 v5, vcc_lo, s1, v3, vcc_lo
	s_clause 0x1
	global_load_dword v14, v[2:3], off
	global_load_dword v15, v[4:5], off
	v_add_co_u32 v2, vcc_lo, v4, s13
	v_add_co_ci_u32_e32 v3, vcc_lo, s0, v5, vcc_lo
	v_add_co_u32 v4, vcc_lo, v2, s6
	v_add_co_ci_u32_e32 v5, vcc_lo, s1, v3, vcc_lo
	global_load_dword v16, v[2:3], off
	v_add_co_u32 v2, vcc_lo, v4, s13
	v_add_co_ci_u32_e32 v3, vcc_lo, s0, v5, vcc_lo
	s_clause 0x4
	global_load_dword v61, v13, s[8:9] offset:784
	global_load_dword v60, v13, s[8:9] offset:1176
	;; [unrolled: 1-line block ×4, first 2 shown]
	global_load_dword v62, v[6:7], off offset:1480
	global_load_dword v17, v[4:5], off
	global_load_dword v18, v[2:3], off
	v_add_co_u32 v2, vcc_lo, v2, s6
	v_add_co_ci_u32_e32 v3, vcc_lo, s1, v3, vcc_lo
	v_add_co_u32 v37, vcc_lo, 0x1000, v70
	v_add_co_ci_u32_e32 v38, vcc_lo, 0, v74, vcc_lo
	global_load_dword v54, v[6:7], off offset:1872
	global_load_dword v19, v[2:3], off
	v_add_co_u32 v2, vcc_lo, v2, s13
	v_add_co_ci_u32_e32 v3, vcc_lo, s0, v3, vcc_lo
	global_load_dword v52, v[37:38], off offset:216
	v_add_co_u32 v4, vcc_lo, v2, s6
	v_add_co_ci_u32_e32 v5, vcc_lo, s1, v3, vcc_lo
	global_load_dword v20, v[2:3], off
	v_add_co_u32 v2, vcc_lo, v4, s13
	v_add_co_ci_u32_e32 v3, vcc_lo, s0, v5, vcc_lo
	global_load_dword v21, v[4:5], off
	;; [unrolled: 3-line block ×4, first 2 shown]
	v_add_co_u32 v4, vcc_lo, v2, s6
	v_add_co_ci_u32_e32 v5, vcc_lo, s1, v3, vcc_lo
	global_load_dword v49, v[37:38], off offset:608
	global_load_dword v2, v[2:3], off
	global_load_dword v3, v[4:5], off
	s_clause 0x1
	global_load_dword v48, v[6:7], off offset:304
	global_load_dword v47, v[37:38], off offset:1000
	v_cmp_eq_u32_e32 vcc_lo, 1, v0
	s_load_dwordx4 s[0:3], s[2:3], 0x0
	v_and_b32_e32 v0, 1, v63
	v_cndmask_b32_e64 v8, 0, 0x1570, vcc_lo
	v_lshlrev_b32_e32 v32, 2, v0
	v_add_nc_u32_e32 v65, v8, v13
	v_lshl_add_u32 v76, v63, 3, v8
	v_lshl_add_u32 v77, v10, 3, v8
	v_add_nc_u32_e32 v67, 0xc00, v65
	v_add_nc_u32_e32 v66, 0x200, v65
	;; [unrolled: 1-line block ×6, first 2 shown]
	s_waitcnt lgkmcnt(0)
	s_mul_hi_u32 s25, s0, 0xab8
	s_mul_i32 s21, s0, 0xab8
	s_mul_i32 s24, s0, 0xfffff6d0
	s_waitcnt vmcnt(23)
	v_lshrrev_b32_e32 v1, 16, v11
	v_mul_f16_sdwa v4, v57, v11 dst_sel:DWORD dst_unused:UNUSED_PAD src0_sel:WORD_1 src1_sel:DWORD
	s_waitcnt vmcnt(22)
	v_lshrrev_b32_e32 v6, 16, v12
	v_mul_f16_sdwa v7, v58, v12 dst_sel:DWORD dst_unused:UNUSED_PAD src0_sel:WORD_1 src1_sel:DWORD
	v_mul_f16_sdwa v5, v57, v1 dst_sel:DWORD dst_unused:UNUSED_PAD src0_sel:WORD_1 src1_sel:DWORD
	v_fma_f16 v1, v57, v1, -v4
	v_mul_f16_sdwa v4, v58, v6 dst_sel:DWORD dst_unused:UNUSED_PAD src0_sel:WORD_1 src1_sel:DWORD
	v_fma_f16 v6, v58, v6, -v7
	v_fmac_f16_e32 v5, v57, v11
	s_waitcnt vmcnt(21)
	v_lshrrev_b32_e32 v11, 16, v14
	v_mul_f16_sdwa v7, v56, v14 dst_sel:DWORD dst_unused:UNUSED_PAD src0_sel:WORD_1 src1_sel:DWORD
	v_pack_b32_f16 v1, v5, v1
	v_fmac_f16_e32 v4, v58, v12
	s_waitcnt vmcnt(20)
	v_lshrrev_b32_e32 v12, 16, v15
	v_mul_f16_sdwa v5, v56, v11 dst_sel:DWORD dst_unused:UNUSED_PAD src0_sel:WORD_1 src1_sel:DWORD
	v_mul_f16_sdwa v13, v59, v15 dst_sel:DWORD dst_unused:UNUSED_PAD src0_sel:WORD_1 src1_sel:DWORD
	v_fma_f16 v7, v56, v11, -v7
	v_pack_b32_f16 v4, v4, v6
	v_mul_f16_sdwa v6, v59, v12 dst_sel:DWORD dst_unused:UNUSED_PAD src0_sel:WORD_1 src1_sel:DWORD
	v_fmac_f16_e32 v5, v56, v14
	v_fma_f16 v11, v59, v12, -v13
	s_waitcnt vmcnt(19)
	v_lshrrev_b32_e32 v12, 16, v16
	s_waitcnt vmcnt(18)
	v_mul_f16_sdwa v13, v61, v16 dst_sel:DWORD dst_unused:UNUSED_PAD src0_sel:WORD_1 src1_sel:DWORD
	ds_write_b32 v65, v4 offset:2744
	v_pack_b32_f16 v4, v5, v7
	v_fmac_f16_e32 v6, v59, v15
	v_mul_f16_sdwa v5, v61, v12 dst_sel:DWORD dst_unused:UNUSED_PAD src0_sel:WORD_1 src1_sel:DWORD
	v_fma_f16 v7, v61, v12, -v13
	s_waitcnt vmcnt(13)
	v_lshrrev_b32_e32 v12, 16, v17
	v_mul_f16_sdwa v13, v62, v17 dst_sel:DWORD dst_unused:UNUSED_PAD src0_sel:WORD_1 src1_sel:DWORD
	ds_write2_b32 v65, v1, v4 offset1:98
	v_pack_b32_f16 v1, v6, v11
	v_fmac_f16_e32 v5, v61, v16
	v_mul_f16_sdwa v4, v62, v12 dst_sel:DWORD dst_unused:UNUSED_PAD src0_sel:WORD_1 src1_sel:DWORD
	s_waitcnt vmcnt(12)
	v_lshrrev_b32_e32 v6, 16, v18
	v_fma_f16 v11, v62, v12, -v13
	v_mul_f16_sdwa v12, v60, v18 dst_sel:DWORD dst_unused:UNUSED_PAD src0_sel:WORD_1 src1_sel:DWORD
	v_pack_b32_f16 v5, v5, v7
	v_fmac_f16_e32 v4, v62, v17
	v_mul_f16_sdwa v7, v60, v6 dst_sel:DWORD dst_unused:UNUSED_PAD src0_sel:WORD_1 src1_sel:DWORD
	s_waitcnt vmcnt(10)
	v_lshrrev_b32_e32 v13, 16, v19
	v_mul_f16_sdwa v14, v54, v19 dst_sel:DWORD dst_unused:UNUSED_PAD src0_sel:WORD_1 src1_sel:DWORD
	v_fma_f16 v6, v60, v6, -v12
	v_pack_b32_f16 v4, v4, v11
	v_fmac_f16_e32 v7, v60, v18
	v_mul_f16_sdwa v11, v54, v13 dst_sel:DWORD dst_unused:UNUSED_PAD src0_sel:WORD_1 src1_sel:DWORD
	v_fma_f16 v12, v54, v13, -v14
	s_waitcnt vmcnt(8)
	v_lshrrev_b32_e32 v13, 16, v20
	v_mul_f16_sdwa v14, v53, v20 dst_sel:DWORD dst_unused:UNUSED_PAD src0_sel:WORD_1 src1_sel:DWORD
	ds_write2_b32 v67, v1, v4 offset0:16 offset1:114
	v_pack_b32_f16 v1, v7, v6
	v_fmac_f16_e32 v11, v54, v19
	v_mul_f16_sdwa v4, v53, v13 dst_sel:DWORD dst_unused:UNUSED_PAD src0_sel:WORD_1 src1_sel:DWORD
	v_fma_f16 v6, v53, v13, -v14
	s_waitcnt vmcnt(7)
	v_lshrrev_b32_e32 v7, 16, v21
	v_mul_f16_sdwa v13, v52, v21 dst_sel:DWORD dst_unused:UNUSED_PAD src0_sel:WORD_1 src1_sel:DWORD
	v_pack_b32_f16 v11, v11, v12
	v_fmac_f16_e32 v4, v53, v20
	s_waitcnt vmcnt(6)
	v_lshrrev_b32_e32 v12, 16, v22
	v_mul_f16_sdwa v14, v52, v7 dst_sel:DWORD dst_unused:UNUSED_PAD src0_sel:WORD_1 src1_sel:DWORD
	v_fma_f16 v7, v52, v7, -v13
	v_mul_f16_sdwa v13, v50, v22 dst_sel:DWORD dst_unused:UNUSED_PAD src0_sel:WORD_1 src1_sel:DWORD
	v_pack_b32_f16 v4, v4, v6
	v_mul_f16_sdwa v6, v50, v12 dst_sel:DWORD dst_unused:UNUSED_PAD src0_sel:WORD_1 src1_sel:DWORD
	s_waitcnt vmcnt(5)
	v_lshrrev_b32_e32 v15, 16, v23
	s_waitcnt vmcnt(3)
	v_lshrrev_b32_e32 v16, 16, v2
	v_fma_f16 v12, v50, v12, -v13
	v_mul_f16_sdwa v13, v49, v23 dst_sel:DWORD dst_unused:UNUSED_PAD src0_sel:WORD_1 src1_sel:DWORD
	s_waitcnt vmcnt(2)
	v_lshrrev_b32_e32 v18, 16, v3
	v_mul_f16_sdwa v17, v49, v15 dst_sel:DWORD dst_unused:UNUSED_PAD src0_sel:WORD_1 src1_sel:DWORD
	s_waitcnt vmcnt(1)
	v_mul_f16_sdwa v19, v48, v16 dst_sel:DWORD dst_unused:UNUSED_PAD src0_sel:WORD_1 src1_sel:DWORD
	v_fmac_f16_e32 v14, v52, v21
	v_fma_f16 v13, v49, v15, -v13
	v_mul_f16_sdwa v15, v48, v2 dst_sel:DWORD dst_unused:UNUSED_PAD src0_sel:WORD_1 src1_sel:DWORD
	s_waitcnt vmcnt(0)
	v_mul_f16_sdwa v20, v47, v3 dst_sel:DWORD dst_unused:UNUSED_PAD src0_sel:WORD_1 src1_sel:DWORD
	v_mul_f16_sdwa v21, v47, v18 dst_sel:DWORD dst_unused:UNUSED_PAD src0_sel:WORD_1 src1_sel:DWORD
	v_fmac_f16_e32 v6, v50, v22
	v_fmac_f16_e32 v19, v48, v2
	v_fma_f16 v15, v48, v16, -v15
	v_fmac_f16_e32 v17, v49, v23
	v_fma_f16 v2, v47, v18, -v20
	v_fmac_f16_e32 v21, v47, v3
	v_pack_b32_f16 v3, v14, v7
	v_pack_b32_f16 v6, v6, v12
	;; [unrolled: 1-line block ×5, first 2 shown]
	ds_write2_b32 v66, v5, v1 offset0:68 offset1:166
	ds_write2_b32 v64, v11, v3 offset0:84 offset1:182
	;; [unrolled: 1-line block ×3, first 2 shown]
	ds_write_b32 v65, v12 offset:2352
	ds_write2_b32 v51, v7, v2 offset0:152 offset1:250
	s_waitcnt lgkmcnt(0)
	s_barrier
	buffer_gl0_inv
	ds_read2_b32 v[6:7], v65 offset1:98
	ds_read2_b32 v[11:12], v68 offset0:76 offset1:174
	ds_read2_b32 v[13:14], v67 offset0:16 offset1:114
	;; [unrolled: 1-line block ×6, first 2 shown]
	v_add_nc_u32_e32 v5, 0x188, v31
	v_add_nc_u32_e32 v4, 0x24c, v31
	;; [unrolled: 1-line block ×5, first 2 shown]
	v_lshl_add_u32 v78, v5, 2, v8
	v_lshl_add_u32 v80, v4, 2, v8
	;; [unrolled: 1-line block ×5, first 2 shown]
	s_waitcnt lgkmcnt(0)
	s_barrier
	buffer_gl0_inv
	v_pk_add_f16 v23, v6, v12 neg_lo:[0,1] neg_hi:[0,1]
	v_pk_add_f16 v13, v7, v13 neg_lo:[0,1] neg_hi:[0,1]
	;; [unrolled: 1-line block ×7, first 2 shown]
	v_pk_fma_f16 v22, v6, 2.0, v23 op_sel_hi:[1,0,1] neg_lo:[0,0,1] neg_hi:[0,0,1]
	v_pk_fma_f16 v12, v7, 2.0, v13 op_sel_hi:[1,0,1] neg_lo:[0,0,1] neg_hi:[0,0,1]
	;; [unrolled: 1-line block ×7, first 2 shown]
	ds_write_b64 v76, v[22:23]
	ds_write_b64 v77, v[12:13]
	;; [unrolled: 1-line block ×7, first 2 shown]
	s_waitcnt lgkmcnt(0)
	s_barrier
	buffer_gl0_inv
	global_load_dword v75, v32, s[10:11]
	v_and_or_b32 v11, 0xfc, v31, v0
	v_lshlrev_b32_e32 v12, 1, v10
	v_and_or_b32 v22, 0x3fc, v5, v0
	v_and_or_b32 v23, 0x3fc, v4, v0
	;; [unrolled: 1-line block ×3, first 2 shown]
	v_lshl_add_u32 v83, v11, 2, v8
	v_and_or_b32 v21, 0x1fc, v12, v0
	ds_read2_b32 v[11:12], v68 offset0:76 offset1:174
	ds_read2_b32 v[15:16], v65 offset1:98
	ds_read2_b32 v[17:18], v67 offset0:16 offset1:114
	ds_read2_b32 v[4:5], v64 offset0:84 offset1:182
	;; [unrolled: 1-line block ×3, first 2 shown]
	v_and_or_b32 v26, 0x7fc, v1, v0
	v_and_or_b32 v27, 0x5fc, v2, v0
	ds_read2_b32 v[0:1], v66 offset0:68 offset1:166
	ds_read2_b32 v[2:3], v55 offset0:136 offset1:234
	v_lshl_add_u32 v84, v21, 2, v8
	v_lshl_add_u32 v86, v23, 2, v8
	;; [unrolled: 1-line block ×6, first 2 shown]
	v_and_b32_e32 v13, 3, v63
	v_and_b32_e32 v14, 3, v10
	s_waitcnt vmcnt(0) lgkmcnt(0)
	s_barrier
	buffer_gl0_inv
	v_lshrrev_b32_e32 v21, 16, v12
	v_lshrrev_b32_e32 v22, 16, v15
	;; [unrolled: 1-line block ×14, first 2 shown]
	v_mad_u64_u32 v[6:7], null, v13, 24, s[10:11]
	v_mul_f16_sdwa v36, v21, v75 dst_sel:DWORD dst_unused:UNUSED_PAD src0_sel:DWORD src1_sel:WORD_1
	v_mul_f16_sdwa v39, v12, v75 dst_sel:DWORD dst_unused:UNUSED_PAD src0_sel:DWORD src1_sel:WORD_1
	;; [unrolled: 1-line block ×14, first 2 shown]
	v_fma_f16 v12, v12, v75, -v36
	v_fmac_f16_e32 v39, v21, v75
	v_fma_f16 v17, v17, v75, -v40
	v_fmac_f16_e32 v42, v23, v75
	;; [unrolled: 2-line block ×4, first 2 shown]
	v_fma_f16 v5, v5, v75, -v45
	v_fma_f16 v19, v19, v75, -v71
	;; [unrolled: 1-line block ×3, first 2 shown]
	v_fmac_f16_e32 v69, v27, v75
	v_fmac_f16_e32 v73, v28, v75
	;; [unrolled: 1-line block ×3, first 2 shown]
	v_sub_f16_e32 v12, v15, v12
	v_sub_f16_e32 v21, v22, v39
	;; [unrolled: 1-line block ×14, first 2 shown]
	v_fma_f16 v15, v15, 2.0, -v12
	v_fma_f16 v22, v22, 2.0, -v21
	v_pack_b32_f16 v12, v12, v21
	v_fma_f16 v16, v16, 2.0, -v17
	v_fma_f16 v21, v30, 2.0, -v23
	;; [unrolled: 1-line block ×3, first 2 shown]
	v_pack_b32_f16 v17, v17, v23
	v_fma_f16 v23, v31, 2.0, -v25
	v_fma_f16 v1, v1, 2.0, -v4
	v_pack_b32_f16 v18, v18, v25
	v_fma_f16 v25, v32, 2.0, -v26
	v_fma_f16 v2, v2, 2.0, -v5
	;; [unrolled: 1-line block ×4, first 2 shown]
	v_pack_b32_f16 v4, v4, v26
	v_fma_f16 v26, v33, 2.0, -v27
	v_pack_b32_f16 v5, v5, v27
	v_fma_f16 v27, v34, 2.0, -v28
	;; [unrolled: 2-line block ×3, first 2 shown]
	v_pack_b32_f16 v15, v15, v22
	v_pack_b32_f16 v16, v16, v21
	;; [unrolled: 1-line block ×8, first 2 shown]
	ds_write2_b32 v83, v15, v12 offset1:2
	ds_write2_b32 v84, v16, v17 offset1:2
	;; [unrolled: 1-line block ×7, first 2 shown]
	v_mad_u64_u32 v[11:12], null, v14, 24, s[10:11]
	s_waitcnt lgkmcnt(0)
	s_barrier
	buffer_gl0_inv
	s_clause 0x3
	global_load_dwordx4 v[0:3], v[6:7], off offset:8
	global_load_dwordx2 v[25:26], v[6:7], off offset:24
	global_load_dwordx4 v[4:7], v[11:12], off offset:8
	global_load_dwordx2 v[27:28], v[11:12], off offset:24
	v_lshrrev_b16 v11, 2, v9
	v_lshrrev_b16 v12, 2, v10
	v_lshrrev_b32_e32 v15, 2, v63
	v_lshrrev_b32_e32 v16, 2, v10
	v_and_b32_e32 v11, 63, v11
	v_and_b32_e32 v12, 63, v12
	v_mul_u32_u24_e32 v15, 28, v15
	v_mul_u32_u24_e32 v23, 28, v16
	v_mul_lo_u16 v11, v11, 37
	v_mul_lo_u16 v12, v12, 37
	v_or_b32_e32 v13, v15, v13
	v_or_b32_e32 v14, v23, v14
	v_lshrrev_b16 v11, 8, v11
	v_lshrrev_b16 v12, 8, v12
	v_lshl_add_u32 v69, v13, 2, v8
	v_lshl_add_u32 v73, v14, 2, v8
	v_mul_lo_u16 v17, v11, 28
	v_mul_lo_u16 v18, v12, 28
	v_sub_nc_u16 v9, v9, v17
	v_sub_nc_u16 v10, v10, v18
	ds_read2_b32 v[15:16], v66 offset0:68 offset1:166
	ds_read2_b32 v[17:18], v51 offset0:152 offset1:250
	;; [unrolled: 1-line block ×6, first 2 shown]
	ds_read2_b32 v[33:34], v65 offset1:98
	s_waitcnt vmcnt(0) lgkmcnt(0)
	v_and_b32_e32 v9, 0xff, v9
	v_and_b32_e32 v10, 0xff, v10
	s_barrier
	buffer_gl0_inv
	v_mad_u64_u32 v[13:14], null, v9, 24, s[10:11]
	v_mad_u64_u32 v[35:36], null, v10, 24, s[10:11]
	v_lshrrev_b32_e32 v23, 16, v15
	v_lshrrev_b32_e32 v39, 16, v17
	;; [unrolled: 1-line block ×12, first 2 shown]
	v_mul_f16_sdwa v91, v15, v0 dst_sel:DWORD dst_unused:UNUSED_PAD src0_sel:DWORD src1_sel:WORD_1
	v_mul_f16_sdwa v92, v23, v0 dst_sel:DWORD dst_unused:UNUSED_PAD src0_sel:DWORD src1_sel:WORD_1
	;; [unrolled: 1-line block ×24, first 2 shown]
	v_fma_f16 v15, v15, v0, -v92
	v_fma_f16 v16, v16, v4, -v100
	;; [unrolled: 1-line block ×5, first 2 shown]
	v_fmac_f16_e32 v91, v23, v0
	v_fmac_f16_e32 v93, v39, v26
	;; [unrolled: 1-line block ×4, first 2 shown]
	v_fma_f16 v17, v17, v26, -v94
	v_fma_f16 v21, v21, v25, -v98
	;; [unrolled: 1-line block ×6, first 2 shown]
	v_fmac_f16_e32 v99, v42, v2
	v_fmac_f16_e32 v102, v43, v3
	v_fma_f16 v31, v32, v7, -v109
	v_fmac_f16_e32 v104, v44, v4
	v_fmac_f16_e32 v106, v45, v5
	;; [unrolled: 1-line block ×6, first 2 shown]
	v_add_f16_e32 v32, v15, v17
	v_sub_f16_e32 v15, v15, v17
	v_add_f16_e32 v17, v91, v93
	v_add_f16_e32 v40, v19, v21
	v_sub_f16_e32 v19, v19, v21
	v_add_f16_e32 v21, v95, v97
	;; [unrolled: 3-line block ×3, first 2 shown]
	v_add_f16_e32 v46, v20, v22
	v_sub_f16_e32 v39, v91, v93
	v_sub_f16_e32 v41, v95, v97
	v_add_f16_e32 v29, v99, v102
	v_sub_f16_e32 v43, v102, v99
	v_sub_f16_e32 v16, v16, v18
	v_add_f16_e32 v18, v104, v112
	v_sub_f16_e32 v20, v20, v22
	v_add_f16_e32 v22, v106, v114
	v_add_f16_e32 v72, v30, v31
	v_sub_f16_e32 v30, v31, v30
	v_add_f16_e32 v31, v108, v110
	v_add_f16_e32 v91, v40, v32
	;; [unrolled: 1-line block ×3, first 2 shown]
	v_sub_f16_e32 v93, v32, v42
	v_sub_f16_e32 v94, v42, v40
	v_add_f16_e32 v97, v23, v19
	v_sub_f16_e32 v98, v23, v19
	v_sub_f16_e32 v32, v40, v32
	v_sub_f16_e32 v19, v19, v15
	v_add_f16_e32 v40, v46, v44
	v_sub_f16_e32 v45, v104, v112
	v_sub_f16_e32 v71, v106, v114
	;; [unrolled: 1-line block ×5, first 2 shown]
	v_add_f16_e32 v99, v43, v41
	v_sub_f16_e32 v100, v43, v41
	v_sub_f16_e32 v17, v21, v17
	;; [unrolled: 1-line block ×3, first 2 shown]
	v_add_f16_e32 v41, v22, v18
	v_sub_f16_e32 v101, v44, v72
	v_sub_f16_e32 v102, v72, v46
	;; [unrolled: 1-line block ×6, first 2 shown]
	v_add_f16_e32 v22, v30, v20
	v_sub_f16_e32 v23, v15, v23
	v_sub_f16_e32 v104, v30, v20
	;; [unrolled: 1-line block ×3, first 2 shown]
	v_add_f16_e32 v42, v42, v91
	v_add_f16_e32 v29, v29, v92
	v_mul_f16_e32 v91, 0xb846, v98
	v_add_f16_e32 v40, v72, v40
	v_mul_f16_e32 v72, 0xbb00, v19
	v_sub_f16_e32 v43, v39, v43
	v_sub_f16_e32 v30, v16, v30
	v_add_f16_e32 v105, v90, v71
	v_sub_f16_e32 v106, v90, v71
	v_sub_f16_e32 v71, v71, v45
	v_add_f16_e32 v15, v97, v15
	v_mul_f16_e32 v92, 0x3a52, v93
	v_mul_f16_e32 v93, 0x3a52, v95
	;; [unrolled: 1-line block ×4, first 2 shown]
	v_add_f16_e32 v31, v31, v41
	v_mul_f16_e32 v41, 0xbb00, v21
	v_add_f16_e32 v16, v22, v16
	v_mul_f16_e32 v22, 0x2b26, v96
	v_mul_f16_e32 v98, 0xb846, v104
	;; [unrolled: 1-line block ×3, first 2 shown]
	v_fma_f16 v19, v19, 0x3b00, -v91
	v_fmamk_f16 v91, v23, 0x3574, v91
	v_fmac_f16_e32 v72, 0xb574, v23
	v_add_f16_e32 v23, v33, v42
	v_add_f16_sdwa v33, v33, v29 dst_sel:DWORD dst_unused:UNUSED_PAD src0_sel:WORD_1 src1_sel:DWORD
	v_sub_f16_e32 v90, v45, v90
	v_add_f16_e32 v39, v99, v39
	v_add_f16_e32 v45, v105, v45
	v_mul_f16_e32 v99, 0x3a52, v101
	v_mul_f16_e32 v100, 0x3a52, v103
	;; [unrolled: 1-line block ×6, first 2 shown]
	v_fmamk_f16 v94, v94, 0x2b26, v92
	v_fma_f16 v97, v32, 0x39e0, -v97
	v_fma_f16 v32, v32, 0xb9e0, -v92
	v_fmamk_f16 v92, v43, 0x3574, v95
	v_fmac_f16_e32 v41, 0xb574, v43
	v_fmamk_f16 v43, v96, 0x2b26, v93
	v_fma_f16 v22, v17, 0x39e0, -v22
	v_fma_f16 v17, v17, 0xb9e0, -v93
	v_add_f16_e32 v93, v34, v40
	v_add_f16_sdwa v34, v34, v31 dst_sel:DWORD dst_unused:UNUSED_PAD src0_sel:WORD_1 src1_sel:DWORD
	v_fma_f16 v20, v20, 0x3b00, -v98
	v_fmamk_f16 v98, v30, 0x3574, v98
	v_fmac_f16_e32 v104, 0xb574, v30
	v_fmamk_f16 v42, v42, 0xbcab, v23
	v_fmamk_f16 v29, v29, 0xbcab, v33
	v_fma_f16 v21, v21, 0x3b00, -v95
	v_fmamk_f16 v95, v102, 0x2b26, v99
	v_fma_f16 v96, v44, 0x39e0, -v103
	v_fma_f16 v44, v44, 0xb9e0, -v99
	v_fmamk_f16 v30, v90, 0x3574, v101
	v_fma_f16 v71, v71, 0x3b00, -v101
	v_fmac_f16_e32 v105, 0xb574, v90
	v_fmamk_f16 v46, v46, 0x2b26, v100
	v_fma_f16 v90, v18, 0x39e0, -v106
	v_fma_f16 v18, v18, 0xb9e0, -v100
	v_fmac_f16_e32 v91, 0x370e, v15
	v_fmac_f16_e32 v19, 0x370e, v15
	;; [unrolled: 1-line block ×3, first 2 shown]
	v_fmamk_f16 v15, v40, 0xbcab, v93
	v_fmamk_f16 v31, v31, 0xbcab, v34
	v_pack_b32_f16 v23, v23, v33
	v_fmac_f16_e32 v92, 0x370e, v39
	v_pack_b32_f16 v33, v93, v34
	v_fmac_f16_e32 v98, 0x370e, v16
	v_fmac_f16_e32 v20, 0x370e, v16
	;; [unrolled: 1-line block ×3, first 2 shown]
	v_add_f16_e32 v16, v94, v42
	v_add_f16_e32 v34, v43, v29
	v_fmac_f16_e32 v21, 0x370e, v39
	v_fmac_f16_e32 v41, 0x370e, v39
	v_add_f16_e32 v39, v97, v42
	v_add_f16_e32 v32, v32, v42
	;; [unrolled: 1-line block ×4, first 2 shown]
	v_fmac_f16_e32 v30, 0x370e, v45
	v_fmac_f16_e32 v71, 0x370e, v45
	;; [unrolled: 1-line block ×3, first 2 shown]
	v_add_f16_e32 v29, v95, v15
	v_add_f16_e32 v40, v46, v31
	v_add_f16_e32 v42, v96, v15
	v_add_f16_e32 v15, v44, v15
	v_add_f16_e32 v18, v18, v31
	v_add_f16_e32 v31, v90, v31
	v_add_f16_e32 v43, v92, v16
	v_sub_f16_e32 v44, v34, v91
	v_add_f16_e32 v45, v41, v32
	v_sub_f16_e32 v46, v17, v72
	v_sub_f16_e32 v90, v39, v21
	v_add_f16_e32 v93, v19, v22
	v_add_f16_e32 v21, v21, v39
	v_sub_f16_e32 v19, v22, v19
	v_sub_f16_e32 v22, v32, v41
	v_add_f16_e32 v17, v72, v17
	v_sub_f16_e32 v16, v16, v92
	v_add_f16_e32 v32, v91, v34
	v_add_f16_e32 v34, v30, v29
	v_sub_f16_e32 v39, v40, v98
	v_add_f16_e32 v41, v105, v15
	v_sub_f16_e32 v72, v18, v104
	v_sub_f16_e32 v91, v42, v71
	v_add_f16_e32 v92, v20, v31
	v_add_f16_e32 v42, v71, v42
	v_sub_f16_e32 v20, v31, v20
	v_sub_f16_e32 v15, v15, v105
	v_add_f16_e32 v18, v104, v18
	v_sub_f16_e32 v29, v29, v30
	v_add_f16_e32 v30, v98, v40
	v_pack_b32_f16 v31, v43, v44
	v_pack_b32_f16 v40, v45, v46
	;; [unrolled: 1-line block ×12, first 2 shown]
	ds_write2_b32 v69, v23, v31 offset1:4
	ds_write2_b32 v69, v40, v43 offset0:8 offset1:12
	ds_write2_b32 v69, v19, v17 offset0:16 offset1:20
	ds_write_b32 v69, v16 offset:96
	ds_write2_b32 v73, v33, v21 offset1:4
	ds_write2_b32 v73, v22, v32 offset0:8 offset1:12
	ds_write2_b32 v73, v20, v15 offset0:16 offset1:20
	ds_write_b32 v73, v18 offset:96
	s_waitcnt lgkmcnt(0)
	s_barrier
	buffer_gl0_inv
	s_clause 0x3
	global_load_dwordx4 v[20:23], v[13:14], off offset:104
	global_load_dwordx2 v[33:34], v[13:14], off offset:120
	global_load_dwordx4 v[16:19], v[35:36], off offset:104
	global_load_dwordx2 v[35:36], v[35:36], off offset:120
	v_mov_b32_e32 v13, 0xc4
	v_mad_u64_u32 v[29:30], null, v63, 24, s[10:11]
	v_mul_u32_u24_sdwa v15, v11, v13 dst_sel:DWORD dst_unused:UNUSED_PAD src0_sel:WORD_0 src1_sel:DWORD
	v_mul_u32_u24_sdwa v43, v12, v13 dst_sel:DWORD dst_unused:UNUSED_PAD src0_sel:WORD_0 src1_sel:DWORD
	ds_read2_b32 v[11:12], v66 offset0:68 offset1:166
	ds_read2_b32 v[13:14], v51 offset0:152 offset1:250
	;; [unrolled: 1-line block ×5, first 2 shown]
	v_add_nc_u32_e32 v15, v15, v9
	v_add_nc_u32_e32 v45, v43, v10
	ds_read2_b32 v[9:10], v64 offset0:84 offset1:182
	v_add_co_u32 v43, vcc_lo, 0x930, v29
	v_lshl_add_u32 v72, v15, 2, v8
	v_lshl_add_u32 v71, v45, 2, v8
	ds_read2_b32 v[45:46], v65 offset1:98
	v_add_co_ci_u32_e32 v44, vcc_lo, 0, v30, vcc_lo
	s_waitcnt vmcnt(0) lgkmcnt(0)
	s_barrier
	buffer_gl0_inv
	v_lshrrev_b32_e32 v8, 16, v11
	v_lshrrev_b32_e32 v15, 16, v13
	;; [unrolled: 1-line block ×12, first 2 shown]
	v_mul_f16_sdwa v101, v8, v20 dst_sel:DWORD dst_unused:UNUSED_PAD src0_sel:DWORD src1_sel:WORD_1
	v_mul_f16_sdwa v100, v11, v20 dst_sel:DWORD dst_unused:UNUSED_PAD src0_sel:DWORD src1_sel:WORD_1
	;; [unrolled: 1-line block ×19, first 2 shown]
	v_fma_f16 v11, v11, v20, -v101
	v_mul_f16_sdwa v101, v10, v35 dst_sel:DWORD dst_unused:UNUSED_PAD src0_sel:DWORD src1_sel:WORD_1
	v_mul_f16_sdwa v111, v95, v18 dst_sel:DWORD dst_unused:UNUSED_PAD src0_sel:DWORD src1_sel:WORD_1
	;; [unrolled: 1-line block ×4, first 2 shown]
	v_fma_f16 v12, v12, v16, -v106
	v_fma_f16 v31, v31, v21, -v104
	;; [unrolled: 1-line block ×9, first 2 shown]
	v_fmac_f16_e32 v100, v8, v20
	v_fmac_f16_e32 v118, v15, v34
	;; [unrolled: 1-line block ×6, first 2 shown]
	v_mul_f16_sdwa v114, v40, v18 dst_sel:DWORD dst_unused:UNUSED_PAD src0_sel:DWORD src1_sel:WORD_1
	v_fmac_f16_e32 v110, v93, v16
	v_fmac_f16_e32 v112, v94, v17
	;; [unrolled: 1-line block ×4, first 2 shown]
	v_fma_f16 v40, v40, v18, -v111
	v_fma_f16 v42, v42, v19, -v113
	v_fmac_f16_e32 v116, v96, v19
	v_add_f16_e32 v8, v11, v13
	v_sub_f16_e32 v11, v11, v13
	v_add_f16_e32 v13, v100, v118
	v_add_f16_e32 v90, v31, v9
	v_sub_f16_e32 v9, v31, v9
	v_add_f16_e32 v31, v103, v122
	v_sub_f16_e32 v91, v103, v122
	;; [unrolled: 2-line block ×4, first 2 shown]
	v_add_f16_e32 v94, v12, v14
	v_add_f16_e32 v96, v32, v10
	v_fmac_f16_e32 v114, v95, v18
	v_sub_f16_e32 v15, v100, v118
	v_sub_f16_e32 v12, v12, v14
	v_add_f16_e32 v14, v110, v119
	v_sub_f16_e32 v10, v32, v10
	v_add_f16_e32 v32, v112, v101
	;; [unrolled: 2-line block ×4, first 2 shown]
	v_add_f16_e32 v101, v31, v13
	v_sub_f16_e32 v102, v8, v92
	v_sub_f16_e32 v103, v92, v90
	v_sub_f16_e32 v104, v13, v41
	v_sub_f16_e32 v105, v41, v31
	v_sub_f16_e32 v8, v90, v8
	v_add_f16_e32 v90, v39, v9
	v_sub_f16_e32 v13, v31, v13
	v_sub_f16_e32 v31, v39, v9
	;; [unrolled: 1-line block ×4, first 2 shown]
	v_add_f16_e32 v108, v96, v94
	v_sub_f16_e32 v95, v110, v119
	v_add_f16_e32 v42, v114, v116
	v_sub_f16_e32 v99, v116, v114
	;; [unrolled: 2-line block ×4, first 2 shown]
	v_sub_f16_e32 v93, v15, v93
	v_sub_f16_e32 v109, v94, v98
	;; [unrolled: 1-line block ×4, first 2 shown]
	v_add_f16_e32 v112, v40, v10
	v_sub_f16_e32 v113, v40, v10
	v_sub_f16_e32 v10, v10, v12
	v_add_f16_e32 v92, v92, v100
	v_add_f16_e32 v41, v41, v101
	;; [unrolled: 1-line block ×4, first 2 shown]
	v_mul_f16_e32 v98, 0x3a52, v102
	v_mul_f16_e32 v31, 0xb846, v31
	;; [unrolled: 1-line block ×4, first 2 shown]
	v_sub_f16_e32 v111, v14, v42
	v_sub_f16_e32 v14, v32, v14
	;; [unrolled: 1-line block ×3, first 2 shown]
	v_add_f16_e32 v114, v99, v97
	v_sub_f16_e32 v115, v99, v97
	v_sub_f16_e32 v97, v97, v95
	v_add_f16_e32 v15, v106, v15
	v_add_f16_e32 v42, v42, v110
	v_mul_f16_e32 v100, 0x2b26, v103
	v_mul_f16_e32 v106, 0xbb00, v91
	;; [unrolled: 1-line block ×4, first 2 shown]
	v_sub_f16_e32 v40, v12, v40
	v_add_f16_e32 v12, v112, v12
	v_mul_f16_e32 v110, 0xb846, v113
	v_mul_f16_e32 v112, 0xbb00, v10
	v_fma_f16 v9, v9, 0x3b00, -v31
	v_fmamk_f16 v31, v39, 0x3574, v31
	v_fmac_f16_e32 v101, 0xb574, v39
	v_fma_f16 v39, v91, 0x3b00, -v102
	v_fmamk_f16 v91, v93, 0x3574, v102
	v_add_f16_e32 v102, v45, v92
	v_add_f16_sdwa v45, v45, v41 dst_sel:DWORD dst_unused:UNUSED_PAD src0_sel:WORD_1 src1_sel:DWORD
	v_sub_f16_e32 v99, v95, v99
	v_add_f16_e32 v95, v114, v95
	v_mul_f16_e32 v108, 0x3a52, v109
	v_mul_f16_e32 v109, 0x2b26, v96
	;; [unrolled: 1-line block ×6, first 2 shown]
	v_fmamk_f16 v103, v103, 0x2b26, v98
	v_fma_f16 v100, v8, 0x39e0, -v100
	v_fma_f16 v8, v8, 0xb9e0, -v98
	v_fmac_f16_e32 v106, 0xb574, v93
	v_fmamk_f16 v93, v105, 0x2b26, v104
	v_fma_f16 v98, v13, 0x39e0, -v107
	v_fma_f16 v13, v13, 0xb9e0, -v104
	v_add_f16_e32 v104, v46, v90
	v_add_f16_sdwa v46, v46, v42 dst_sel:DWORD dst_unused:UNUSED_PAD src0_sel:WORD_1 src1_sel:DWORD
	v_fma_f16 v10, v10, 0x3b00, -v110
	v_fmamk_f16 v107, v40, 0x3574, v110
	v_fmac_f16_e32 v112, 0xb574, v40
	v_fmamk_f16 v92, v92, 0xbcab, v102
	v_fmamk_f16 v41, v41, 0xbcab, v45
	v_fmamk_f16 v96, v96, 0x2b26, v108
	v_fma_f16 v105, v94, 0x39e0, -v109
	v_fma_f16 v94, v94, 0xb9e0, -v108
	;; [unrolled: 1-line block ×3, first 2 shown]
	v_fmamk_f16 v97, v99, 0x3574, v113
	v_fmac_f16_e32 v114, 0xb574, v99
	v_fmamk_f16 v32, v32, 0x2b26, v111
	v_fma_f16 v99, v14, 0x39e0, -v115
	v_fma_f16 v14, v14, 0xb9e0, -v111
	v_fmac_f16_e32 v31, 0x370e, v11
	v_fmac_f16_e32 v9, 0x370e, v11
	;; [unrolled: 1-line block ×6, first 2 shown]
	v_fmamk_f16 v11, v90, 0xbcab, v104
	v_fmamk_f16 v15, v42, 0xbcab, v46
	v_pack_b32_f16 v42, v104, v46
	v_fmac_f16_e32 v107, 0x370e, v12
	v_fmac_f16_e32 v10, 0x370e, v12
	v_fmac_f16_e32 v112, 0x370e, v12
	v_add_f16_e32 v12, v103, v92
	v_add_f16_e32 v46, v93, v41
	;; [unrolled: 1-line block ×6, first 2 shown]
	v_fmac_f16_e32 v97, 0x370e, v95
	v_fmac_f16_e32 v40, 0x370e, v95
	;; [unrolled: 1-line block ×3, first 2 shown]
	v_add_f16_e32 v92, v96, v11
	v_add_f16_e32 v32, v32, v15
	;; [unrolled: 1-line block ×7, first 2 shown]
	v_sub_f16_e32 v98, v46, v31
	v_sub_f16_e32 v95, v90, v39
	v_add_f16_e32 v39, v39, v90
	v_add_f16_e32 v90, v9, v41
	v_sub_f16_e32 v9, v41, v9
	v_add_f16_e32 v41, v106, v8
	v_sub_f16_e32 v96, v13, v101
	v_sub_f16_e32 v8, v8, v106
	v_add_f16_e32 v13, v101, v13
	v_sub_f16_e32 v12, v12, v91
	v_add_f16_e32 v31, v31, v46
	v_add_f16_e32 v46, v97, v92
	v_sub_f16_e32 v91, v93, v40
	v_add_f16_e32 v40, v40, v93
	;; [unrolled: 3-line block ×3, first 2 shown]
	v_sub_f16_e32 v11, v11, v114
	v_sub_f16_e32 v99, v14, v112
	v_add_f16_e32 v14, v112, v14
	v_sub_f16_e32 v100, v32, v107
	v_sub_f16_e32 v92, v92, v97
	v_add_f16_e32 v32, v107, v32
	v_pack_b32_f16 v45, v102, v45
	v_pack_b32_f16 v94, v94, v98
	;; [unrolled: 1-line block ×13, first 2 shown]
	ds_write2_b32 v72, v45, v94 offset1:28
	ds_write2_b32 v72, v41, v90 offset0:56 offset1:84
	ds_write2_b32 v72, v9, v8 offset0:112 offset1:140
	ds_write_b32 v72, v12 offset:672
	ds_write2_b32 v71, v42, v13 offset1:28
	ds_write2_b32 v71, v15, v31 offset0:56 offset1:84
	ds_write2_b32 v71, v10, v11 offset0:112 offset1:140
	ds_write_b32 v71, v14 offset:672
	s_waitcnt lgkmcnt(0)
	s_barrier
	buffer_gl0_inv
	s_clause 0x3
	global_load_dwordx4 v[8:11], v[29:30], off offset:776
	global_load_dwordx4 v[12:15], v[43:44], off offset:776
	global_load_dwordx2 v[31:32], v[29:30], off offset:792
	global_load_dwordx2 v[29:30], v[43:44], off offset:792
	ds_read2_b32 v[90:91], v66 offset0:68 offset1:166
	ds_read2_b32 v[92:93], v55 offset0:136 offset1:234
	;; [unrolled: 1-line block ×6, first 2 shown]
	ds_read2_b32 v[96:97], v65 offset1:98
	v_add_co_u32 v94, vcc_lo, 0x1570, v70
	v_add_co_ci_u32_e32 v95, vcc_lo, 0, v74, vcc_lo
	s_waitcnt lgkmcnt(6)
	v_lshrrev_b32_e32 v98, 16, v90
	v_lshrrev_b32_e32 v99, 16, v91
	s_waitcnt lgkmcnt(5)
	v_lshrrev_b32_e32 v100, 16, v92
	v_lshrrev_b32_e32 v101, 16, v93
	s_waitcnt lgkmcnt(4)
	v_lshrrev_b32_e32 v102, 16, v45
	s_waitcnt lgkmcnt(3)
	v_lshrrev_b32_e32 v104, 16, v41
	v_lshrrev_b32_e32 v105, 16, v42
	;; [unrolled: 1-line block ×3, first 2 shown]
	s_waitcnt lgkmcnt(2)
	v_lshrrev_b32_e32 v106, 16, v39
	v_lshrrev_b32_e32 v107, 16, v40
	s_waitcnt lgkmcnt(1)
	v_lshrrev_b32_e32 v108, 16, v43
	v_lshrrev_b32_e32 v109, 16, v44
	s_waitcnt vmcnt(3)
	v_mul_f16_sdwa v110, v98, v8 dst_sel:DWORD dst_unused:UNUSED_PAD src0_sel:DWORD src1_sel:WORD_1
	s_waitcnt vmcnt(2)
	v_mul_f16_sdwa v111, v99, v12 dst_sel:DWORD dst_unused:UNUSED_PAD src0_sel:DWORD src1_sel:WORD_1
	v_mul_f16_sdwa v112, v90, v8 dst_sel:DWORD dst_unused:UNUSED_PAD src0_sel:DWORD src1_sel:WORD_1
	;; [unrolled: 1-line block ×6, first 2 shown]
	v_fma_f16 v90, v90, v8, -v110
	v_mul_f16_sdwa v110, v105, v15 dst_sel:DWORD dst_unused:UNUSED_PAD src0_sel:DWORD src1_sel:WORD_1
	v_mul_f16_sdwa v113, v91, v12 dst_sel:DWORD dst_unused:UNUSED_PAD src0_sel:DWORD src1_sel:WORD_1
	;; [unrolled: 1-line block ×6, first 2 shown]
	v_fma_f16 v91, v91, v12, -v111
	v_mul_f16_sdwa v111, v41, v11 dst_sel:DWORD dst_unused:UNUSED_PAD src0_sel:DWORD src1_sel:WORD_1
	v_fma_f16 v92, v92, v9, -v114
	v_fma_f16 v93, v93, v13, -v115
	v_mul_f16_sdwa v114, v42, v15 dst_sel:DWORD dst_unused:UNUSED_PAD src0_sel:DWORD src1_sel:WORD_1
	s_waitcnt vmcnt(1)
	v_mul_f16_sdwa v115, v106, v31 dst_sel:DWORD dst_unused:UNUSED_PAD src0_sel:DWORD src1_sel:WORD_1
	v_fma_f16 v45, v45, v10, -v118
	s_waitcnt vmcnt(0)
	v_mul_f16_sdwa v118, v107, v29 dst_sel:DWORD dst_unused:UNUSED_PAD src0_sel:DWORD src1_sel:WORD_1
	v_fma_f16 v41, v41, v11, -v122
	v_fma_f16 v42, v42, v15, -v110
	v_mul_f16_sdwa v110, v108, v32 dst_sel:DWORD dst_unused:UNUSED_PAD src0_sel:DWORD src1_sel:WORD_1
	v_mul_f16_sdwa v122, v109, v30 dst_sel:DWORD dst_unused:UNUSED_PAD src0_sel:DWORD src1_sel:WORD_1
	;; [unrolled: 1-line block ×3, first 2 shown]
	v_fma_f16 v46, v46, v14, -v119
	v_mul_f16_sdwa v119, v39, v31 dst_sel:DWORD dst_unused:UNUSED_PAD src0_sel:DWORD src1_sel:WORD_1
	v_fma_f16 v39, v39, v31, -v115
	v_fma_f16 v115, v40, v29, -v118
	v_mul_f16_sdwa v40, v40, v29 dst_sel:DWORD dst_unused:UNUSED_PAD src0_sel:DWORD src1_sel:WORD_1
	v_mul_f16_sdwa v118, v43, v32 dst_sel:DWORD dst_unused:UNUSED_PAD src0_sel:DWORD src1_sel:WORD_1
	v_fma_f16 v43, v43, v32, -v110
	v_fma_f16 v110, v44, v30, -v122
	v_mul_f16_sdwa v44, v44, v30 dst_sel:DWORD dst_unused:UNUSED_PAD src0_sel:DWORD src1_sel:WORD_1
	v_fmac_f16_e32 v112, v98, v8
	v_fmac_f16_e32 v116, v100, v9
	;; [unrolled: 1-line block ×12, first 2 shown]
	v_add_f16_e32 v98, v90, v43
	v_sub_f16_e32 v43, v90, v43
	v_add_f16_e32 v90, v112, v118
	v_sub_f16_e32 v99, v112, v118
	;; [unrolled: 2-line block ×6, first 2 shown]
	v_add_f16_e32 v104, v91, v110
	v_add_f16_e32 v105, v113, v44
	;; [unrolled: 1-line block ×3, first 2 shown]
	v_sub_f16_e32 v93, v93, v115
	v_add_f16_e32 v107, v117, v40
	v_add_f16_e32 v108, v46, v42
	v_sub_f16_e32 v42, v42, v46
	v_sub_f16_e32 v91, v91, v110
	;; [unrolled: 1-line block ×4, first 2 shown]
	v_add_f16_e32 v46, v121, v114
	v_sub_f16_e32 v109, v114, v121
	v_add_f16_e32 v110, v100, v98
	v_add_f16_e32 v112, v92, v90
	v_sub_f16_e32 v113, v92, v90
	v_sub_f16_e32 v90, v90, v45
	v_sub_f16_e32 v92, v45, v92
	v_add_f16_e32 v114, v41, v39
	v_sub_f16_e32 v115, v41, v39
	v_sub_f16_e32 v39, v39, v43
	v_add_f16_e32 v116, v103, v101
	v_sub_f16_e32 v117, v103, v101
	v_sub_f16_e32 v101, v101, v99
	;; [unrolled: 3-line block ×3, first 2 shown]
	v_sub_f16_e32 v106, v108, v106
	v_add_f16_e32 v120, v107, v105
	v_add_f16_e32 v122, v42, v93
	v_sub_f16_e32 v111, v100, v98
	v_sub_f16_e32 v98, v98, v102
	;; [unrolled: 1-line block ×8, first 2 shown]
	v_add_f16_e32 v102, v102, v110
	v_sub_f16_e32 v110, v42, v93
	v_sub_f16_e32 v42, v91, v42
	;; [unrolled: 1-line block ×3, first 2 shown]
	v_add_f16_e32 v45, v45, v112
	v_add_f16_e32 v112, v109, v40
	;; [unrolled: 1-line block ×3, first 2 shown]
	v_sub_f16_e32 v114, v109, v40
	v_sub_f16_e32 v40, v40, v44
	v_add_f16_e32 v99, v116, v99
	v_add_f16_e32 v108, v108, v118
	;; [unrolled: 1-line block ×4, first 2 shown]
	v_mul_f16_e32 v90, 0x3a52, v90
	v_mul_f16_e32 v116, 0x2b26, v92
	;; [unrolled: 1-line block ×8, first 2 shown]
	v_sub_f16_e32 v109, v44, v109
	v_add_f16_e32 v44, v112, v44
	v_mul_f16_e32 v98, 0x3a52, v98
	v_mul_f16_e32 v112, 0x2b26, v100
	;; [unrolled: 1-line block ×3, first 2 shown]
	v_fmamk_f16 v92, v92, 0x2b26, v90
	v_fma_f16 v116, v113, 0x39e0, -v116
	v_fma_f16 v90, v113, 0xb9e0, -v90
	;; [unrolled: 1-line block ×3, first 2 shown]
	v_fmamk_f16 v113, v41, 0x3574, v115
	v_fmac_f16_e32 v118, 0xb574, v41
	v_fma_f16 v41, v101, 0x3b00, -v117
	v_fmamk_f16 v101, v103, 0x3574, v117
	v_fmac_f16_e32 v120, 0xb574, v103
	s_waitcnt lgkmcnt(0)
	v_add_f16_e32 v103, v96, v102
	v_add_f16_sdwa v96, v96, v45 dst_sel:DWORD dst_unused:UNUSED_PAD src0_sel:WORD_1 src1_sel:DWORD
	v_mul_f16_e32 v117, 0xbb00, v93
	v_mul_f16_e32 v114, 0xb846, v114
	v_fmamk_f16 v106, v106, 0x2b26, v104
	v_fma_f16 v122, v119, 0x39e0, -v122
	v_fma_f16 v104, v119, 0xb9e0, -v104
	v_mul_f16_e32 v119, 0xbb00, v40
	v_mul_f16_e32 v105, 0x3a52, v105
	v_fmamk_f16 v100, v100, 0x2b26, v98
	v_fma_f16 v112, v111, 0x39e0, -v112
	v_fma_f16 v98, v111, 0xb9e0, -v98
	v_mul_f16_e32 v111, 0x2b26, v107
	v_add_f16_e32 v115, v97, v108
	v_add_f16_sdwa v97, v97, v46 dst_sel:DWORD dst_unused:UNUSED_PAD src0_sel:WORD_1 src1_sel:DWORD
	v_fma_f16 v93, v93, 0x3b00, -v110
	v_fmamk_f16 v110, v42, 0x3574, v110
	v_fmac_f16_e32 v117, 0xb574, v42
	v_fma_f16 v40, v40, 0x3b00, -v114
	v_fmamk_f16 v42, v109, 0x3574, v114
	v_fmac_f16_e32 v119, 0xb574, v109
	v_fmac_f16_e32 v113, 0x370e, v43
	;; [unrolled: 1-line block ×4, first 2 shown]
	v_fmamk_f16 v43, v102, 0xbcab, v103
	v_fmamk_f16 v45, v45, 0xbcab, v96
	;; [unrolled: 1-line block ×3, first 2 shown]
	v_fma_f16 v111, v121, 0x39e0, -v111
	v_fma_f16 v105, v121, 0xb9e0, -v105
	v_fmac_f16_e32 v101, 0x370e, v99
	v_fmac_f16_e32 v41, 0x370e, v99
	;; [unrolled: 1-line block ×3, first 2 shown]
	v_fmamk_f16 v99, v108, 0xbcab, v115
	v_fmamk_f16 v46, v46, 0xbcab, v97
	v_fmac_f16_e32 v42, 0x370e, v44
	v_fmac_f16_e32 v40, 0x370e, v44
	;; [unrolled: 1-line block ×3, first 2 shown]
	v_add_f16_e32 v44, v100, v43
	v_add_f16_e32 v92, v92, v45
	v_pack_b32_f16 v102, v115, v97
	v_fmac_f16_e32 v110, 0x370e, v91
	v_fmac_f16_e32 v93, 0x370e, v91
	;; [unrolled: 1-line block ×3, first 2 shown]
	v_add_f16_e32 v91, v112, v43
	v_add_f16_e32 v43, v98, v43
	;; [unrolled: 1-line block ×4, first 2 shown]
	v_pack_b32_f16 v96, v103, v96
	v_add_f16_e32 v90, v106, v99
	v_add_f16_e32 v98, v122, v99
	;; [unrolled: 1-line block ×7, first 2 shown]
	v_sub_f16_e32 v44, v44, v101
	v_sub_f16_e32 v101, v92, v113
	;; [unrolled: 1-line block ×3, first 2 shown]
	v_add_f16_e32 v41, v41, v91
	v_add_f16_e32 v91, v39, v97
	v_sub_f16_e32 v39, v97, v39
	v_add_f16_e32 v97, v120, v43
	v_sub_f16_e32 v105, v45, v118
	v_sub_f16_e32 v43, v43, v120
	v_add_f16_e32 v45, v118, v45
	v_add_f16_e32 v92, v113, v92
	v_sub_f16_e32 v107, v98, v40
	v_add_f16_e32 v40, v40, v98
	v_add_f16_e32 v98, v93, v100
	v_sub_f16_e32 v93, v100, v93
	v_add_f16_e32 v100, v119, v99
	v_sub_f16_e32 v99, v99, v119
	v_sub_f16_e32 v108, v46, v117
	v_add_f16_e32 v46, v117, v46
	v_add_f16_e32 v109, v42, v90
	v_sub_f16_e32 v42, v90, v42
	v_sub_f16_e32 v90, v103, v110
	v_add_f16_e32 v103, v110, v103
	v_pack_b32_f16 v101, v106, v101
	v_pack_b32_f16 v97, v97, v105
	;; [unrolled: 1-line block ×12, first 2 shown]
	ds_write_b32 v65, v101 offset:784
	ds_write_b32 v65, v97 offset:1568
	;; [unrolled: 1-line block ×6, first 2 shown]
	ds_write2_b32 v65, v96, v102 offset1:98
	ds_write_b32 v65, v44 offset:1176
	ds_write_b32 v65, v45 offset:1960
	;; [unrolled: 1-line block ×6, first 2 shown]
	s_waitcnt lgkmcnt(0)
	s_barrier
	buffer_gl0_inv
	global_load_dword v96, v[37:38], off offset:1392
	v_add_co_u32 v37, vcc_lo, 0x2000, v70
	v_add_co_ci_u32_e32 v38, vcc_lo, 0, v74, vcc_lo
	s_clause 0x7
	global_load_dword v97, v[94:95], off offset:392
	global_load_dword v98, v[37:38], off offset:432
	;; [unrolled: 1-line block ×8, first 2 shown]
	v_add_co_u32 v39, vcc_lo, 0x1800, v70
	v_add_co_ci_u32_e32 v40, vcc_lo, 0, v74, vcc_lo
	v_add_co_u32 v41, vcc_lo, 0x2800, v70
	v_add_co_ci_u32_e32 v42, vcc_lo, 0, v74, vcc_lo
	s_clause 0x4
	global_load_dword v94, v[94:95], off offset:1960
	global_load_dword v95, v[37:38], off offset:40
	;; [unrolled: 1-line block ×5, first 2 shown]
	ds_read2_b32 v[37:38], v65 offset1:98
	ds_read2_b32 v[39:40], v67 offset0:16 offset1:114
	ds_read2_b32 v[41:42], v66 offset0:68 offset1:166
	;; [unrolled: 1-line block ×6, first 2 shown]
	s_waitcnt lgkmcnt(6)
	v_lshrrev_b32_e32 v106, 16, v37
	v_lshrrev_b32_e32 v107, 16, v38
	s_waitcnt lgkmcnt(5)
	v_lshrrev_b32_e32 v108, 16, v39
	v_lshrrev_b32_e32 v109, 16, v40
	;; [unrolled: 3-line block ×7, first 2 shown]
	s_waitcnt vmcnt(13)
	v_mul_f16_sdwa v118, v37, v96 dst_sel:DWORD dst_unused:UNUSED_PAD src0_sel:DWORD src1_sel:WORD_1
	v_mul_f16_sdwa v120, v106, v96 dst_sel:DWORD dst_unused:UNUSED_PAD src0_sel:DWORD src1_sel:WORD_1
	s_waitcnt vmcnt(12)
	v_mul_f16_sdwa v122, v107, v97 dst_sel:DWORD dst_unused:UNUSED_PAD src0_sel:DWORD src1_sel:WORD_1
	v_fmac_f16_e32 v118, v106, v96
	v_mul_f16_sdwa v106, v38, v97 dst_sel:DWORD dst_unused:UNUSED_PAD src0_sel:DWORD src1_sel:WORD_1
	v_fma_f16 v37, v37, v96, -v120
	s_waitcnt vmcnt(11)
	v_mul_f16_sdwa v96, v39, v98 dst_sel:DWORD dst_unused:UNUSED_PAD src0_sel:DWORD src1_sel:WORD_1
	v_fma_f16 v38, v38, v97, -v122
	v_mul_f16_sdwa v120, v108, v98 dst_sel:DWORD dst_unused:UNUSED_PAD src0_sel:DWORD src1_sel:WORD_1
	s_waitcnt vmcnt(10)
	v_mul_f16_sdwa v122, v109, v99 dst_sel:DWORD dst_unused:UNUSED_PAD src0_sel:DWORD src1_sel:WORD_1
	v_fmac_f16_e32 v106, v107, v97
	v_mul_f16_sdwa v97, v40, v99 dst_sel:DWORD dst_unused:UNUSED_PAD src0_sel:DWORD src1_sel:WORD_1
	s_waitcnt vmcnt(9)
	v_mul_f16_sdwa v107, v41, v100 dst_sel:DWORD dst_unused:UNUSED_PAD src0_sel:DWORD src1_sel:WORD_1
	v_fmac_f16_e32 v96, v108, v98
	v_mul_f16_sdwa v108, v110, v100 dst_sel:DWORD dst_unused:UNUSED_PAD src0_sel:DWORD src1_sel:WORD_1
	v_fma_f16 v39, v39, v98, -v120
	s_waitcnt vmcnt(8)
	v_mul_f16_sdwa v98, v111, v101 dst_sel:DWORD dst_unused:UNUSED_PAD src0_sel:DWORD src1_sel:WORD_1
	v_fma_f16 v40, v40, v99, -v122
	v_mul_f16_sdwa v120, v42, v101 dst_sel:DWORD dst_unused:UNUSED_PAD src0_sel:DWORD src1_sel:WORD_1
	s_waitcnt vmcnt(7)
	v_mul_f16_sdwa v122, v43, v102 dst_sel:DWORD dst_unused:UNUSED_PAD src0_sel:DWORD src1_sel:WORD_1
	v_fmac_f16_e32 v97, v109, v99
	;; [unrolled: 13-line block ×3, first 2 shown]
	v_mul_f16_sdwa v101, v46, v94 dst_sel:DWORD dst_unused:UNUSED_PAD src0_sel:DWORD src1_sel:WORD_1
	s_waitcnt vmcnt(3)
	v_mul_f16_sdwa v111, v91, v95 dst_sel:DWORD dst_unused:UNUSED_PAD src0_sel:DWORD src1_sel:WORD_1
	v_fmac_f16_e32 v122, v112, v102
	v_mul_f16_sdwa v112, v116, v95 dst_sel:DWORD dst_unused:UNUSED_PAD src0_sel:DWORD src1_sel:WORD_1
	v_fma_f16 v43, v43, v102, -v99
	s_waitcnt vmcnt(2)
	v_mul_f16_sdwa v99, v117, v70 dst_sel:DWORD dst_unused:UNUSED_PAD src0_sel:DWORD src1_sel:WORD_1
	v_fma_f16 v44, v44, v103, -v109
	v_mul_f16_sdwa v102, v90, v70 dst_sel:DWORD dst_unused:UNUSED_PAD src0_sel:DWORD src1_sel:WORD_1
	v_fmac_f16_e32 v110, v113, v103
	s_waitcnt vmcnt(0)
	v_mul_f16_sdwa v103, v119, v105 dst_sel:DWORD dst_unused:UNUSED_PAD src0_sel:DWORD src1_sel:WORD_1
	v_mul_f16_sdwa v113, v121, v74 dst_sel:DWORD dst_unused:UNUSED_PAD src0_sel:DWORD src1_sel:WORD_1
	v_fmac_f16_e32 v100, v114, v104
	v_mul_f16_sdwa v114, v93, v74 dst_sel:DWORD dst_unused:UNUSED_PAD src0_sel:DWORD src1_sel:WORD_1
	v_mul_f16_sdwa v109, v92, v105 dst_sel:DWORD dst_unused:UNUSED_PAD src0_sel:DWORD src1_sel:WORD_1
	v_fma_f16 v45, v45, v104, -v98
	v_fma_f16 v46, v46, v94, -v108
	v_fmac_f16_e32 v101, v115, v94
	v_fmac_f16_e32 v111, v116, v95
	v_fma_f16 v91, v91, v95, -v112
	v_fma_f16 v90, v90, v70, -v99
	v_fmac_f16_e32 v102, v117, v70
	v_fma_f16 v70, v92, v105, -v103
	v_fma_f16 v92, v93, v74, -v113
	v_fmac_f16_e32 v114, v121, v74
	v_fmac_f16_e32 v109, v119, v105
	v_pack_b32_f16 v37, v37, v118
	v_pack_b32_f16 v38, v38, v106
	;; [unrolled: 1-line block ×14, first 2 shown]
	ds_write2_b32 v65, v37, v38 offset1:98
	ds_write2_b32 v67, v39, v40 offset0:16 offset1:114
	ds_write2_b32 v66, v41, v42 offset0:68 offset1:166
	;; [unrolled: 1-line block ×6, first 2 shown]
	s_waitcnt lgkmcnt(0)
	s_barrier
	buffer_gl0_inv
	ds_read2_b32 v[37:38], v65 offset1:98
	ds_read2_b32 v[39:40], v68 offset0:76 offset1:174
	ds_read2_b32 v[41:42], v67 offset0:16 offset1:114
	;; [unrolled: 1-line block ×6, first 2 shown]
	s_waitcnt lgkmcnt(0)
	s_barrier
	buffer_gl0_inv
	v_pk_add_f16 v94, v37, v40 neg_lo:[0,1] neg_hi:[0,1]
	v_pk_add_f16 v41, v38, v41 neg_lo:[0,1] neg_hi:[0,1]
	;; [unrolled: 1-line block ×7, first 2 shown]
	v_pk_fma_f16 v93, v37, 2.0, v94 op_sel_hi:[1,0,1] neg_lo:[0,0,1] neg_hi:[0,0,1]
	v_pk_fma_f16 v40, v38, 2.0, v41 op_sel_hi:[1,0,1] neg_lo:[0,0,1] neg_hi:[0,0,1]
	;; [unrolled: 1-line block ×7, first 2 shown]
	ds_write_b64 v76, v[93:94]
	ds_write_b64 v77, v[40:41]
	;; [unrolled: 1-line block ×7, first 2 shown]
	s_waitcnt lgkmcnt(0)
	s_barrier
	buffer_gl0_inv
	ds_read2_b32 v[37:38], v68 offset0:76 offset1:174
	ds_read2_b32 v[39:40], v67 offset0:16 offset1:114
	;; [unrolled: 1-line block ×4, first 2 shown]
	ds_read2_b32 v[45:46], v65 offset1:98
	ds_read2_b32 v[76:77], v66 offset0:68 offset1:166
	ds_read2_b32 v[78:79], v55 offset0:136 offset1:234
	s_waitcnt lgkmcnt(0)
	s_barrier
	buffer_gl0_inv
	v_lshrrev_b32_e32 v70, 16, v38
	v_mul_f16_sdwa v74, v75, v38 dst_sel:DWORD dst_unused:UNUSED_PAD src0_sel:WORD_1 src1_sel:DWORD
	v_lshrrev_b32_e32 v80, 16, v39
	v_lshrrev_b32_e32 v82, 16, v40
	;; [unrolled: 1-line block ×6, first 2 shown]
	v_fma_f16 v74, v75, v70, -v74
	v_mul_f16_sdwa v70, v75, v70 dst_sel:DWORD dst_unused:UNUSED_PAD src0_sel:WORD_1 src1_sel:DWORD
	v_mul_f16_sdwa v81, v75, v39 dst_sel:DWORD dst_unused:UNUSED_PAD src0_sel:WORD_1 src1_sel:DWORD
	v_mul_f16_sdwa v106, v75, v80 dst_sel:DWORD dst_unused:UNUSED_PAD src0_sel:WORD_1 src1_sel:DWORD
	v_mul_f16_sdwa v90, v75, v40 dst_sel:DWORD dst_unused:UNUSED_PAD src0_sel:WORD_1 src1_sel:DWORD
	v_mul_f16_sdwa v107, v75, v82 dst_sel:DWORD dst_unused:UNUSED_PAD src0_sel:WORD_1 src1_sel:DWORD
	v_mul_f16_sdwa v92, v75, v41 dst_sel:DWORD dst_unused:UNUSED_PAD src0_sel:WORD_1 src1_sel:DWORD
	v_mul_f16_sdwa v96, v75, v42 dst_sel:DWORD dst_unused:UNUSED_PAD src0_sel:WORD_1 src1_sel:DWORD
	v_mul_f16_sdwa v108, v75, v91 dst_sel:DWORD dst_unused:UNUSED_PAD src0_sel:WORD_1 src1_sel:DWORD
	v_mul_f16_sdwa v97, v75, v43 dst_sel:DWORD dst_unused:UNUSED_PAD src0_sel:WORD_1 src1_sel:DWORD
	v_mul_f16_sdwa v98, v75, v44 dst_sel:DWORD dst_unused:UNUSED_PAD src0_sel:WORD_1 src1_sel:DWORD
	v_mul_f16_sdwa v109, v75, v93 dst_sel:DWORD dst_unused:UNUSED_PAD src0_sel:WORD_1 src1_sel:DWORD
	v_mul_f16_sdwa v110, v75, v94 dst_sel:DWORD dst_unused:UNUSED_PAD src0_sel:WORD_1 src1_sel:DWORD
	v_mul_f16_sdwa v111, v75, v95 dst_sel:DWORD dst_unused:UNUSED_PAD src0_sel:WORD_1 src1_sel:DWORD
	v_lshrrev_b32_e32 v99, 16, v45
	v_fmac_f16_e32 v70, v75, v38
	v_lshrrev_b32_e32 v100, 16, v46
	v_fma_f16 v80, v75, v80, -v81
	v_fmac_f16_e32 v106, v75, v39
	v_lshrrev_b32_e32 v101, 16, v76
	v_fma_f16 v81, v75, v82, -v90
	v_fmac_f16_e32 v107, v75, v40
	v_lshrrev_b32_e32 v102, 16, v77
	v_lshrrev_b32_e32 v103, 16, v78
	v_fma_f16 v82, v75, v91, -v92
	v_fma_f16 v90, v75, v93, -v96
	v_fmac_f16_e32 v108, v75, v41
	v_lshrrev_b32_e32 v104, 16, v79
	v_lshrrev_b32_e32 v105, 16, v37
	v_fma_f16 v91, v75, v94, -v97
	v_fma_f16 v92, v75, v95, -v98
	v_fmac_f16_e32 v109, v75, v42
	v_fmac_f16_e32 v110, v75, v43
	;; [unrolled: 1-line block ×3, first 2 shown]
	v_sub_f16_e32 v38, v99, v74
	v_sub_f16_e32 v70, v45, v70
	;; [unrolled: 1-line block ×14, first 2 shown]
	v_fma_f16 v74, v99, 2.0, -v38
	v_fma_f16 v45, v45, 2.0, -v70
	;; [unrolled: 1-line block ×5, first 2 shown]
	v_pack_b32_f16 v38, v70, v38
	v_fma_f16 v70, v76, 2.0, -v81
	v_fma_f16 v91, v102, 2.0, -v41
	v_pack_b32_f16 v39, v75, v39
	v_fma_f16 v75, v77, 2.0, -v90
	v_fma_f16 v93, v103, 2.0, -v42
	v_fma_f16 v95, v104, 2.0, -v43
	v_fma_f16 v97, v105, 2.0, -v44
	v_fma_f16 v76, v78, 2.0, -v92
	v_fma_f16 v77, v79, 2.0, -v94
	v_fma_f16 v37, v37, 2.0, -v96
	v_pack_b32_f16 v45, v45, v74
	v_pack_b32_f16 v46, v46, v80
	;; [unrolled: 1-line block ×12, first 2 shown]
	ds_write2_b32 v83, v45, v38 offset1:2
	ds_write2_b32 v84, v46, v39 offset1:2
	;; [unrolled: 1-line block ×7, first 2 shown]
	s_waitcnt lgkmcnt(0)
	s_barrier
	buffer_gl0_inv
	ds_read2_b32 v[37:38], v66 offset0:68 offset1:166
	ds_read2_b32 v[39:40], v55 offset0:136 offset1:234
	;; [unrolled: 1-line block ×6, first 2 shown]
	ds_read2_b32 v[76:77], v65 offset1:98
	s_waitcnt lgkmcnt(0)
	s_barrier
	buffer_gl0_inv
	v_lshrrev_b32_e32 v70, 16, v37
	v_mul_f16_sdwa v78, v0, v37 dst_sel:DWORD dst_unused:UNUSED_PAD src0_sel:WORD_1 src1_sel:DWORD
	v_lshrrev_b32_e32 v79, 16, v39
	v_mul_f16_sdwa v80, v1, v39 dst_sel:DWORD dst_unused:UNUSED_PAD src0_sel:WORD_1 src1_sel:DWORD
	;; [unrolled: 2-line block ×12, first 2 shown]
	v_fma_f16 v78, v0, v70, -v78
	v_mul_f16_sdwa v70, v0, v70 dst_sel:DWORD dst_unused:UNUSED_PAD src0_sel:WORD_1 src1_sel:DWORD
	v_fma_f16 v80, v1, v79, -v80
	v_mul_f16_sdwa v79, v1, v79 dst_sel:DWORD dst_unused:UNUSED_PAD src0_sel:WORD_1 src1_sel:DWORD
	;; [unrolled: 2-line block ×3, first 2 shown]
	v_mul_f16_sdwa v101, v4, v85 dst_sel:DWORD dst_unused:UNUSED_PAD src0_sel:WORD_1 src1_sel:DWORD
	v_fma_f16 v85, v4, v85, -v86
	v_mul_f16_sdwa v86, v5, v87 dst_sel:DWORD dst_unused:UNUSED_PAD src0_sel:WORD_1 src1_sel:DWORD
	v_fma_f16 v87, v5, v87, -v88
	;; [unrolled: 2-line block ×4, first 2 shown]
	v_fma_f16 v92, v25, v93, -v94
	v_mul_f16_sdwa v93, v25, v93 dst_sel:DWORD dst_unused:UNUSED_PAD src0_sel:WORD_1 src1_sel:DWORD
	v_fma_f16 v94, v26, v95, -v96
	v_mul_f16_sdwa v95, v26, v95 dst_sel:DWORD dst_unused:UNUSED_PAD src0_sel:WORD_1 src1_sel:DWORD
	;; [unrolled: 2-line block ×3, first 2 shown]
	v_mul_f16_sdwa v96, v27, v97 dst_sel:DWORD dst_unused:UNUSED_PAD src0_sel:WORD_1 src1_sel:DWORD
	v_fma_f16 v97, v27, v97, -v98
	v_mul_f16_sdwa v98, v28, v99 dst_sel:DWORD dst_unused:UNUSED_PAD src0_sel:WORD_1 src1_sel:DWORD
	v_fma_f16 v99, v28, v99, -v100
	v_fmac_f16_e32 v70, v0, v37
	v_fmac_f16_e32 v79, v1, v39
	;; [unrolled: 1-line block ×5, first 2 shown]
	v_add_f16_e32 v0, v78, v94
	v_add_f16_e32 v2, v80, v92
	v_fmac_f16_e32 v83, v3, v43
	v_fmac_f16_e32 v101, v4, v38
	;; [unrolled: 1-line block ×7, first 2 shown]
	v_sub_f16_e32 v1, v78, v94
	v_sub_f16_e32 v3, v80, v92
	v_add_f16_e32 v4, v82, v84
	v_sub_f16_e32 v5, v84, v82
	v_add_f16_e32 v6, v85, v99
	;; [unrolled: 2-line block ×3, first 2 shown]
	v_sub_f16_e32 v26, v87, v97
	v_sub_f16_e32 v28, v91, v89
	v_add_f16_e32 v37, v70, v95
	v_add_f16_e32 v39, v79, v93
	v_add_f16_e32 v43, v2, v0
	v_add_f16_e32 v27, v89, v91
	v_sub_f16_e32 v38, v70, v95
	v_sub_f16_e32 v40, v79, v93
	v_add_f16_e32 v41, v81, v83
	v_sub_f16_e32 v42, v83, v81
	v_sub_f16_e32 v44, v0, v4
	v_sub_f16_e32 v45, v4, v2
	v_add_f16_e32 v46, v5, v3
	v_sub_f16_e32 v70, v5, v3
	v_sub_f16_e32 v0, v2, v0
	;; [unrolled: 1-line block ×3, first 2 shown]
	v_add_f16_e32 v3, v101, v98
	v_add_f16_e32 v75, v86, v96
	;; [unrolled: 1-line block ×4, first 2 shown]
	v_sub_f16_e32 v84, v28, v26
	v_sub_f16_e32 v26, v26, v7
	v_add_f16_e32 v4, v4, v43
	v_add_f16_e32 v43, v39, v37
	v_sub_f16_e32 v5, v1, v5
	v_sub_f16_e32 v78, v86, v96
	v_add_f16_e32 v79, v88, v90
	v_sub_f16_e32 v80, v90, v88
	v_sub_f16_e32 v82, v25, v6
	;; [unrolled: 1-line block ×5, first 2 shown]
	v_add_f16_e32 v87, v42, v40
	v_sub_f16_e32 v88, v42, v40
	v_add_f16_e32 v1, v46, v1
	v_mul_f16_e32 v46, 0x3846, v70
	v_mul_f16_e32 v70, 0x3b00, v2
	v_add_f16_e32 v27, v27, v81
	v_add_f16_e32 v81, v75, v3
	v_mul_f16_e32 v84, 0x3846, v84
	v_mul_f16_e32 v92, 0x3b00, v26
	v_sub_f16_e32 v74, v101, v98
	v_sub_f16_e32 v85, v37, v41
	;; [unrolled: 1-line block ×3, first 2 shown]
	v_add_f16_e32 v41, v41, v43
	v_mul_f16_e32 v44, 0x3a52, v44
	v_sub_f16_e32 v37, v39, v37
	v_sub_f16_e32 v39, v40, v38
	v_mul_f16_e32 v40, 0x2b26, v45
	v_sub_f16_e32 v42, v38, v42
	v_add_f16_e32 v7, v83, v7
	v_sub_f16_e32 v83, v75, v3
	v_sub_f16_e32 v3, v3, v79
	;; [unrolled: 1-line block ×4, first 2 shown]
	v_mul_f16_e32 v6, 0x3a52, v6
	v_mul_f16_e32 v91, 0x2b26, v25
	v_add_f16_sdwa v43, v76, v4 dst_sel:DWORD dst_unused:UNUSED_PAD src0_sel:WORD_1 src1_sel:DWORD
	v_add_f16_e32 v38, v87, v38
	v_mul_f16_e32 v87, 0x3846, v88
	v_fmamk_f16 v88, v5, 0xb574, v46
	v_fma_f16 v2, v2, 0xbb00, -v46
	v_fmac_f16_e32 v70, 0x3574, v5
	v_add_f16_e32 v46, v79, v81
	v_fma_f16 v26, v26, 0xbb00, -v84
	v_fmamk_f16 v81, v28, 0xb574, v84
	v_fmac_f16_e32 v92, 0x3574, v28
	v_add_f16_sdwa v28, v77, v27 dst_sel:DWORD dst_unused:UNUSED_PAD src0_sel:WORD_1 src1_sel:DWORD
	v_add_f16_e32 v89, v80, v78
	v_sub_f16_e32 v78, v78, v74
	v_mul_f16_e32 v85, 0x3a52, v85
	v_add_f16_e32 v76, v76, v41
	v_fmamk_f16 v45, v45, 0x2b26, v44
	v_fma_f16 v40, v0, 0x39e0, -v40
	v_fma_f16 v0, v0, 0xb9e0, -v44
	v_mul_f16_e32 v5, 0x2b26, v86
	v_mul_f16_e32 v44, 0x3b00, v39
	v_sub_f16_e32 v80, v74, v80
	v_fmamk_f16 v25, v25, 0x2b26, v6
	v_fma_f16 v79, v82, 0x39e0, -v91
	v_fma_f16 v6, v82, 0xb9e0, -v6
	v_mul_f16_e32 v3, 0x3a52, v3
	v_mul_f16_e32 v82, 0x2b26, v75
	;; [unrolled: 1-line block ×3, first 2 shown]
	v_fmamk_f16 v4, v4, 0xbcab, v43
	v_fmac_f16_e32 v88, 0xb70e, v1
	v_fmamk_f16 v90, v42, 0xb574, v87
	v_fma_f16 v39, v39, 0xbb00, -v87
	v_fmac_f16_e32 v2, 0xb70e, v1
	v_fmac_f16_e32 v70, 0xb70e, v1
	v_add_f16_e32 v1, v77, v46
	v_fmac_f16_e32 v81, 0xb70e, v7
	v_fmac_f16_e32 v26, 0xb70e, v7
	;; [unrolled: 1-line block ×3, first 2 shown]
	v_fmamk_f16 v7, v27, 0xbcab, v28
	v_add_f16_e32 v74, v89, v74
	v_mul_f16_e32 v89, 0x3b00, v78
	v_fmamk_f16 v86, v86, 0x2b26, v85
	v_fmamk_f16 v27, v41, 0xbcab, v76
	v_fma_f16 v5, v37, 0x39e0, -v5
	v_fma_f16 v37, v37, 0xb9e0, -v85
	v_fmac_f16_e32 v44, 0x3574, v42
	v_fmamk_f16 v42, v75, 0x2b26, v3
	v_fma_f16 v75, v83, 0x39e0, -v82
	v_fma_f16 v77, v78, 0xbb00, -v84
	v_fmamk_f16 v78, v80, 0xb574, v84
	v_pack_b32_f16 v41, v76, v43
	v_add_f16_e32 v43, v45, v4
	v_fmac_f16_e32 v90, 0xb70e, v38
	v_add_f16_e32 v40, v40, v4
	v_add_f16_e32 v0, v0, v4
	v_fmac_f16_e32 v39, 0xb70e, v38
	v_add_f16_e32 v4, v25, v7
	v_add_f16_e32 v25, v79, v7
	;; [unrolled: 1-line block ×3, first 2 shown]
	v_fmamk_f16 v7, v46, 0xbcab, v1
	v_fma_f16 v3, v83, 0xb9e0, -v3
	v_fmac_f16_e32 v89, 0x3574, v80
	v_pack_b32_f16 v1, v1, v28
	v_add_f16_e32 v28, v86, v27
	v_fmac_f16_e32 v44, 0xb70e, v38
	v_add_f16_e32 v37, v37, v27
	v_add_f16_e32 v5, v5, v27
	v_fmac_f16_e32 v78, 0xb70e, v74
	v_fmac_f16_e32 v77, 0xb70e, v74
	v_sub_f16_e32 v38, v43, v90
	v_add_f16_e32 v45, v39, v40
	v_sub_f16_e32 v39, v40, v39
	v_add_f16_e32 v40, v90, v43
	v_add_f16_e32 v42, v42, v7
	;; [unrolled: 1-line block ×3, first 2 shown]
	v_fmac_f16_e32 v89, 0xb70e, v74
	v_add_f16_e32 v3, v3, v7
	v_add_f16_e32 v74, v88, v28
	v_sub_f16_e32 v27, v0, v44
	v_add_f16_e32 v75, v70, v37
	v_sub_f16_e32 v76, v5, v2
	v_add_f16_e32 v0, v44, v0
	v_add_f16_e32 v2, v2, v5
	v_sub_f16_e32 v5, v37, v70
	v_sub_f16_e32 v28, v28, v88
	v_add_f16_e32 v7, v77, v25
	v_sub_f16_e32 v25, v25, v77
	v_sub_f16_e32 v46, v4, v78
	v_add_f16_e32 v4, v78, v4
	v_sub_f16_e32 v37, v43, v26
	v_add_f16_e32 v26, v26, v43
	v_add_f16_e32 v70, v81, v42
	v_sub_f16_e32 v42, v42, v81
	v_sub_f16_e32 v44, v6, v89
	v_add_f16_e32 v6, v89, v6
	v_add_f16_e32 v43, v92, v3
	v_sub_f16_e32 v3, v3, v92
	v_pack_b32_f16 v38, v74, v38
	v_pack_b32_f16 v27, v75, v27
	;; [unrolled: 1-line block ×12, first 2 shown]
	ds_write2_b32 v69, v41, v38 offset1:4
	ds_write2_b32 v69, v27, v45 offset0:8 offset1:12
	ds_write2_b32 v69, v2, v0 offset0:16 offset1:20
	ds_write_b32 v69, v5 offset:96
	ds_write2_b32 v73, v1, v28 offset1:4
	ds_write2_b32 v73, v39, v7 offset0:8 offset1:12
	ds_write2_b32 v73, v25, v3 offset0:16 offset1:20
	ds_write_b32 v73, v4 offset:96
	s_waitcnt lgkmcnt(0)
	s_barrier
	buffer_gl0_inv
	ds_read2_b32 v[4:5], v66 offset0:68 offset1:166
	ds_read2_b32 v[6:7], v55 offset0:136 offset1:234
	;; [unrolled: 1-line block ×6, first 2 shown]
	ds_read2_b32 v[42:43], v65 offset1:98
	v_mad_u64_u32 v[0:1], null, s2, v24, 0
	v_mad_u64_u32 v[2:3], null, s0, v63, 0
	s_waitcnt lgkmcnt(0)
	s_barrier
	buffer_gl0_inv
	s_mul_i32 s2, s1, 0xab8
	v_mov_b32_e32 v37, v1
	s_add_i32 s25, s25, s2
	v_mov_b32_e32 v1, v3
	v_lshrrev_b32_e32 v3, 16, v4
	v_mul_f16_sdwa v44, v20, v4 dst_sel:DWORD dst_unused:UNUSED_PAD src0_sel:WORD_1 src1_sel:DWORD
	v_lshrrev_b32_e32 v45, 16, v6
	v_mul_f16_sdwa v46, v21, v6 dst_sel:DWORD dst_unused:UNUSED_PAD src0_sel:WORD_1 src1_sel:DWORD
	;; [unrolled: 2-line block ×12, first 2 shown]
	v_fma_f16 v44, v20, v3, -v44
	v_mul_f16_sdwa v3, v20, v3 dst_sel:DWORD dst_unused:UNUSED_PAD src0_sel:WORD_1 src1_sel:DWORD
	v_fma_f16 v46, v21, v45, -v46
	v_mul_f16_sdwa v45, v21, v45 dst_sel:DWORD dst_unused:UNUSED_PAD src0_sel:WORD_1 src1_sel:DWORD
	;; [unrolled: 2-line block ×4, first 2 shown]
	v_mul_f16_sdwa v91, v16, v75 dst_sel:DWORD dst_unused:UNUSED_PAD src0_sel:WORD_1 src1_sel:DWORD
	v_mul_f16_sdwa v92, v17, v77 dst_sel:DWORD dst_unused:UNUSED_PAD src0_sel:WORD_1 src1_sel:DWORD
	;; [unrolled: 1-line block ×4, first 2 shown]
	v_fma_f16 v75, v16, v75, -v76
	v_fma_f16 v76, v17, v77, -v78
	;; [unrolled: 1-line block ×5, first 2 shown]
	v_mul_f16_sdwa v80, v33, v83 dst_sel:DWORD dst_unused:UNUSED_PAD src0_sel:WORD_1 src1_sel:DWORD
	v_fma_f16 v81, v34, v85, -v86
	v_mul_f16_sdwa v82, v34, v85 dst_sel:DWORD dst_unused:UNUSED_PAD src0_sel:WORD_1 src1_sel:DWORD
	v_mul_f16_sdwa v83, v35, v87 dst_sel:DWORD dst_unused:UNUSED_PAD src0_sel:WORD_1 src1_sel:DWORD
	;; [unrolled: 1-line block ×3, first 2 shown]
	v_fma_f16 v85, v35, v87, -v88
	v_fma_f16 v86, v36, v89, -v90
	v_fmac_f16_e32 v3, v20, v4
	v_fmac_f16_e32 v45, v21, v6
	;; [unrolled: 1-line block ×12, first 2 shown]
	v_add_f16_e32 v4, v44, v81
	v_sub_f16_e32 v5, v44, v81
	v_add_f16_e32 v6, v46, v79
	v_sub_f16_e32 v7, v46, v79
	;; [unrolled: 2-line block ×9, first 2 shown]
	v_add_f16_e32 v34, v91, v84
	v_add_f16_e32 v36, v92, v83
	;; [unrolled: 1-line block ×3, first 2 shown]
	v_sub_f16_e32 v44, v6, v4
	v_sub_f16_e32 v4, v4, v16
	;; [unrolled: 1-line block ×3, first 2 shown]
	v_add_f16_e32 v45, v17, v7
	v_sub_f16_e32 v46, v17, v7
	v_sub_f16_e32 v7, v7, v5
	v_add_f16_e32 v69, v20, v18
	v_sub_f16_e32 v70, v20, v18
	v_sub_f16_e32 v18, v18, v22
	;; [unrolled: 1-line block ×3, first 2 shown]
	v_add_f16_e32 v73, v23, v21
	v_sub_f16_e32 v74, v23, v21
	v_sub_f16_e32 v21, v21, v19
	v_add_f16_e32 v39, v93, v94
	v_sub_f16_e32 v17, v5, v17
	v_sub_f16_e32 v23, v19, v23
	v_add_f16_e32 v16, v16, v41
	v_add_f16_e32 v5, v45, v5
	;; [unrolled: 1-line block ×5, first 2 shown]
	v_sub_f16_e32 v45, v26, v25
	v_sub_f16_e32 v25, v25, v28
	;; [unrolled: 1-line block ×3, first 2 shown]
	v_add_f16_e32 v69, v33, v27
	v_sub_f16_e32 v73, v33, v27
	v_sub_f16_e32 v27, v27, v3
	v_mul_f16_e32 v4, 0x3a52, v4
	v_mul_f16_e32 v75, 0x2b26, v6
	;; [unrolled: 1-line block ×4, first 2 shown]
	v_add_f16_e32 v77, v36, v34
	v_mul_f16_e32 v18, 0x3a52, v18
	v_mul_f16_e32 v81, 0x2b26, v20
	;; [unrolled: 1-line block ×4, first 2 shown]
	v_sub_f16_e32 v38, v92, v83
	v_sub_f16_e32 v40, v94, v93
	;; [unrolled: 1-line block ×7, first 2 shown]
	v_add_f16_e32 v28, v28, v41
	v_add_f16_e32 v3, v69, v3
	v_fmamk_f16 v6, v6, 0x2b26, v4
	v_fma_f16 v41, v44, 0x39e0, -v75
	v_fma_f16 v4, v44, 0xb9e0, -v4
	;; [unrolled: 1-line block ×3, first 2 shown]
	v_fmamk_f16 v44, v17, 0xb574, v46
	v_fmac_f16_e32 v76, 0x3574, v17
	v_add_f16_e32 v17, v39, v77
	v_fmamk_f16 v20, v20, 0x2b26, v18
	v_fma_f16 v39, v70, 0x39e0, -v81
	v_fma_f16 v18, v70, 0xb9e0, -v18
	;; [unrolled: 1-line block ×3, first 2 shown]
	v_fmamk_f16 v46, v23, 0xb574, v74
	v_fmac_f16_e32 v82, 0x3574, v23
	v_mul_f16_e32 v23, 0x3a52, v25
	v_mul_f16_e32 v25, 0x2b26, v26
	;; [unrolled: 1-line block ×4, first 2 shown]
	v_add_f16_sdwa v73, v42, v16 dst_sel:DWORD dst_unused:UNUSED_PAD src0_sel:WORD_1 src1_sel:DWORD
	v_add_f16_sdwa v74, v43, v22 dst_sel:DWORD dst_unused:UNUSED_PAD src0_sel:WORD_1 src1_sel:DWORD
	v_sub_f16_e32 v80, v40, v38
	v_add_f16_e32 v79, v40, v38
	v_sub_f16_e32 v38, v38, v35
	v_fmamk_f16 v26, v26, 0x2b26, v23
	v_fma_f16 v25, v45, 0x39e0, -v25
	v_fma_f16 v23, v45, 0xb9e0, -v23
	;; [unrolled: 1-line block ×3, first 2 shown]
	v_fmamk_f16 v45, v33, 0xb574, v69
	v_fmac_f16_e32 v70, 0x3574, v33
	v_fmac_f16_e32 v44, 0xb70e, v5
	;; [unrolled: 1-line block ×4, first 2 shown]
	v_add_f16_e32 v5, v42, v28
	v_fmamk_f16 v16, v16, 0xbcab, v73
	v_fmac_f16_e32 v46, 0xb70e, v19
	v_fmac_f16_e32 v21, 0xb70e, v19
	;; [unrolled: 1-line block ×3, first 2 shown]
	v_fmamk_f16 v19, v22, 0xbcab, v74
	v_sub_f16_e32 v40, v35, v40
	v_mul_f16_e32 v34, 0x3a52, v34
	v_mul_f16_e32 v77, 0x3846, v80
	v_add_f16_e32 v33, v43, v17
	v_add_f16_e32 v35, v79, v35
	v_mul_f16_e32 v75, 0x2b26, v36
	v_mul_f16_e32 v79, 0x3b00, v38
	v_add_f16_e32 v6, v6, v16
	v_add_f16_e32 v22, v41, v16
	;; [unrolled: 1-line block ×3, first 2 shown]
	v_fmac_f16_e32 v45, 0xb70e, v3
	v_fmac_f16_e32 v27, 0xb70e, v3
	;; [unrolled: 1-line block ×3, first 2 shown]
	v_add_f16_e32 v3, v20, v19
	v_add_f16_e32 v16, v39, v19
	;; [unrolled: 1-line block ×3, first 2 shown]
	v_fmamk_f16 v19, v28, 0xbcab, v5
	v_fmamk_f16 v36, v36, 0x2b26, v34
	v_fma_f16 v38, v38, 0xbb00, -v77
	v_fmamk_f16 v43, v40, 0xb574, v77
	v_fmamk_f16 v17, v17, 0xbcab, v33
	v_fma_f16 v42, v78, 0x39e0, -v75
	v_fma_f16 v34, v78, 0xb9e0, -v34
	v_fmac_f16_e32 v79, 0x3574, v40
	v_add_f16_e32 v26, v26, v19
	v_add_f16_e32 v25, v25, v19
	;; [unrolled: 1-line block ×3, first 2 shown]
	v_fmac_f16_e32 v43, 0xb70e, v35
	v_fmac_f16_e32 v38, 0xb70e, v35
	v_pack_b32_f16 v20, v33, v74
	v_add_f16_e32 v33, v36, v17
	v_fmac_f16_e32 v79, 0xb70e, v35
	v_sub_f16_e32 v28, v6, v45
	v_add_f16_e32 v35, v42, v17
	v_add_f16_e32 v17, v34, v17
	;; [unrolled: 1-line block ×4, first 2 shown]
	v_sub_f16_e32 v22, v22, v27
	v_sub_f16_e32 v27, v4, v70
	;; [unrolled: 1-line block ×3, first 2 shown]
	v_add_f16_e32 v7, v7, v25
	v_add_f16_e32 v25, v76, v19
	;; [unrolled: 1-line block ×3, first 2 shown]
	v_sub_f16_e32 v19, v19, v76
	v_add_f16_e32 v6, v45, v6
	v_sub_f16_e32 v26, v26, v44
	v_add_f16_e32 v34, v38, v16
	v_sub_f16_e32 v16, v16, v38
	v_sub_f16_e32 v38, v3, v43
	v_add_f16_e32 v42, v46, v33
	v_pack_b32_f16 v5, v5, v73
	v_sub_f16_e32 v36, v18, v79
	v_add_f16_e32 v18, v79, v18
	v_add_f16_e32 v3, v43, v3
	v_sub_f16_e32 v41, v35, v21
	v_add_f16_e32 v21, v21, v35
	v_add_f16_e32 v35, v82, v17
	v_sub_f16_e32 v17, v17, v82
	v_sub_f16_e32 v33, v33, v46
	v_pack_b32_f16 v28, v40, v28
	v_pack_b32_f16 v25, v25, v27
	v_pack_b32_f16 v23, v39, v23
	v_pack_b32_f16 v7, v7, v22
	v_pack_b32_f16 v4, v19, v4
	v_pack_b32_f16 v6, v26, v6
	v_pack_b32_f16 v19, v42, v38
	v_pack_b32_f16 v22, v35, v36
	v_pack_b32_f16 v26, v41, v34
	v_pack_b32_f16 v16, v21, v16
	v_pack_b32_f16 v17, v17, v18
	v_pack_b32_f16 v3, v33, v3
	ds_write2_b32 v72, v5, v28 offset1:28
	ds_write2_b32 v72, v25, v23 offset0:56 offset1:84
	ds_write2_b32 v72, v7, v4 offset0:112 offset1:140
	ds_write_b32 v72, v6 offset:672
	ds_write2_b32 v71, v20, v19 offset1:28
	ds_write2_b32 v71, v22, v26 offset0:56 offset1:84
	ds_write2_b32 v71, v16, v17 offset0:112 offset1:140
	ds_write_b32 v71, v3 offset:672
	v_mad_u64_u32 v[20:21], null, s3, v24, v[37:38]
	v_mad_u64_u32 v[21:22], null, s1, v63, v[1:2]
	s_waitcnt lgkmcnt(0)
	s_barrier
	buffer_gl0_inv
	ds_read2_b32 v[4:5], v66 offset0:68 offset1:166
	ds_read2_b32 v[6:7], v55 offset0:136 offset1:234
	;; [unrolled: 1-line block ×4, first 2 shown]
	v_mov_b32_e32 v1, v20
	ds_read2_b32 v[22:23], v64 offset0:84 offset1:182
	v_mov_b32_e32 v3, v21
	ds_read2_b32 v[20:21], v51 offset0:152 offset1:250
	s_mul_hi_u32 s3, s0, 0xfffff6d0
	v_lshlrev_b64 v[24:25], 2, v[0:1]
	ds_read2_b32 v[0:1], v65 offset1:98
	v_lshlrev_b64 v[2:3], 2, v[2:3]
	s_mulk_i32 s1, 0xf6d0
	s_sub_i32 s26, s3, s0
	s_add_i32 s26, s26, s1
	s_waitcnt lgkmcnt(6)
	v_lshrrev_b32_e32 v26, 16, v4
	s_waitcnt lgkmcnt(5)
	v_lshrrev_b32_e32 v27, 16, v6
	;; [unrolled: 2-line block ×4, first 2 shown]
	v_lshrrev_b32_e32 v34, 16, v5
	v_lshrrev_b32_e32 v35, 16, v7
	;; [unrolled: 1-line block ×3, first 2 shown]
	v_mul_f16_sdwa v37, v8, v4 dst_sel:DWORD dst_unused:UNUSED_PAD src0_sel:WORD_1 src1_sel:DWORD
	v_mul_f16_sdwa v38, v9, v6 dst_sel:DWORD dst_unused:UNUSED_PAD src0_sel:WORD_1 src1_sel:DWORD
	v_mul_f16_sdwa v39, v10, v16 dst_sel:DWORD dst_unused:UNUSED_PAD src0_sel:WORD_1 src1_sel:DWORD
	v_mul_f16_sdwa v40, v11, v18 dst_sel:DWORD dst_unused:UNUSED_PAD src0_sel:WORD_1 src1_sel:DWORD
	v_lshrrev_b32_e32 v41, 16, v19
	v_mul_f16_sdwa v42, v12, v5 dst_sel:DWORD dst_unused:UNUSED_PAD src0_sel:WORD_1 src1_sel:DWORD
	v_mul_f16_sdwa v43, v13, v7 dst_sel:DWORD dst_unused:UNUSED_PAD src0_sel:WORD_1 src1_sel:DWORD
	;; [unrolled: 1-line block ×3, first 2 shown]
	s_waitcnt lgkmcnt(2)
	v_lshrrev_b32_e32 v45, 16, v22
	v_mul_f16_sdwa v46, v15, v19 dst_sel:DWORD dst_unused:UNUSED_PAD src0_sel:WORD_1 src1_sel:DWORD
	s_waitcnt lgkmcnt(1)
	v_lshrrev_b32_e32 v63, 16, v20
	v_lshrrev_b32_e32 v69, 16, v23
	;; [unrolled: 1-line block ×3, first 2 shown]
	v_mul_f16_sdwa v71, v31, v22 dst_sel:DWORD dst_unused:UNUSED_PAD src0_sel:WORD_1 src1_sel:DWORD
	v_mul_f16_sdwa v72, v32, v20 dst_sel:DWORD dst_unused:UNUSED_PAD src0_sel:WORD_1 src1_sel:DWORD
	v_mul_f16_sdwa v73, v29, v23 dst_sel:DWORD dst_unused:UNUSED_PAD src0_sel:WORD_1 src1_sel:DWORD
	v_mul_f16_sdwa v74, v30, v21 dst_sel:DWORD dst_unused:UNUSED_PAD src0_sel:WORD_1 src1_sel:DWORD
	v_mul_f16_sdwa v75, v8, v26 dst_sel:DWORD dst_unused:UNUSED_PAD src0_sel:WORD_1 src1_sel:DWORD
	v_fma_f16 v26, v8, v26, -v37
	v_mul_f16_sdwa v37, v9, v27 dst_sel:DWORD dst_unused:UNUSED_PAD src0_sel:WORD_1 src1_sel:DWORD
	v_fma_f16 v27, v9, v27, -v38
	v_mul_f16_sdwa v38, v10, v28 dst_sel:DWORD dst_unused:UNUSED_PAD src0_sel:WORD_1 src1_sel:DWORD
	v_fma_f16 v28, v10, v28, -v39
	v_mul_f16_sdwa v39, v11, v33 dst_sel:DWORD dst_unused:UNUSED_PAD src0_sel:WORD_1 src1_sel:DWORD
	v_fma_f16 v33, v11, v33, -v40
	v_mul_f16_sdwa v40, v12, v34 dst_sel:DWORD dst_unused:UNUSED_PAD src0_sel:WORD_1 src1_sel:DWORD
	v_mul_f16_sdwa v76, v13, v35 dst_sel:DWORD dst_unused:UNUSED_PAD src0_sel:WORD_1 src1_sel:DWORD
	v_mul_f16_sdwa v77, v14, v36 dst_sel:DWORD dst_unused:UNUSED_PAD src0_sel:WORD_1 src1_sel:DWORD
	;; [unrolled: 1-line block ×3, first 2 shown]
	v_fma_f16 v34, v12, v34, -v42
	v_fma_f16 v35, v13, v35, -v43
	;; [unrolled: 1-line block ×4, first 2 shown]
	v_mul_f16_sdwa v42, v31, v45 dst_sel:DWORD dst_unused:UNUSED_PAD src0_sel:WORD_1 src1_sel:DWORD
	v_fma_f16 v43, v31, v45, -v71
	v_mul_f16_sdwa v44, v32, v63 dst_sel:DWORD dst_unused:UNUSED_PAD src0_sel:WORD_1 src1_sel:DWORD
	v_fma_f16 v45, v32, v63, -v72
	v_mul_f16_sdwa v46, v29, v69 dst_sel:DWORD dst_unused:UNUSED_PAD src0_sel:WORD_1 src1_sel:DWORD
	v_fma_f16 v63, v29, v69, -v73
	v_mul_f16_sdwa v69, v30, v70 dst_sel:DWORD dst_unused:UNUSED_PAD src0_sel:WORD_1 src1_sel:DWORD
	v_fma_f16 v70, v30, v70, -v74
	v_fmac_f16_e32 v75, v8, v4
	v_fmac_f16_e32 v37, v9, v6
	;; [unrolled: 1-line block ×11, first 2 shown]
	v_add_f16_e32 v4, v26, v45
	v_add_f16_e32 v6, v27, v43
	v_sub_f16_e32 v7, v27, v43
	v_add_f16_e32 v8, v28, v33
	v_sub_f16_e32 v9, v33, v28
	;; [unrolled: 2-line block ×5, first 2 shown]
	v_fmac_f16_e32 v69, v30, v21
	v_sub_f16_e32 v5, v26, v45
	v_add_f16_e32 v16, v75, v44
	v_add_f16_e32 v18, v37, v42
	v_sub_f16_e32 v19, v37, v42
	v_sub_f16_e32 v21, v39, v38
	v_add_f16_e32 v22, v6, v4
	v_sub_f16_e32 v23, v6, v4
	v_sub_f16_e32 v4, v4, v8
	;; [unrolled: 1-line block ×6, first 2 shown]
	v_add_f16_e32 v34, v12, v10
	v_sub_f16_e32 v35, v12, v10
	v_sub_f16_e32 v10, v10, v14
	;; [unrolled: 1-line block ×3, first 2 shown]
	v_add_f16_e32 v36, v15, v13
	v_sub_f16_e32 v37, v15, v13
	v_sub_f16_e32 v13, v13, v11
	v_add_f16_e32 v26, v9, v7
	v_sub_f16_e32 v7, v7, v5
	v_add_f16_e32 v28, v40, v69
	v_add_f16_e32 v30, v76, v46
	v_sub_f16_e32 v17, v75, v44
	v_add_f16_e32 v20, v38, v39
	v_sub_f16_e32 v9, v5, v9
	v_sub_f16_e32 v29, v40, v69
	;; [unrolled: 1-line block ×3, first 2 shown]
	v_add_f16_e32 v38, v18, v16
	v_add_f16_e32 v8, v8, v22
	;; [unrolled: 1-line block ×3, first 2 shown]
	v_mul_f16_e32 v4, 0x3a52, v4
	v_add_f16_e32 v14, v14, v34
	v_mul_f16_e32 v34, 0x2b26, v6
	v_mul_f16_e32 v27, 0x3846, v27
	v_add_f16_e32 v42, v33, v31
	v_mul_f16_e32 v10, 0x3a52, v10
	v_mul_f16_e32 v44, 0x2b26, v12
	;; [unrolled: 1-line block ×4, first 2 shown]
	v_add_f16_e32 v32, v77, v78
	v_add_f16_e32 v11, v36, v11
	v_mul_f16_e32 v36, 0x3b00, v7
	v_add_f16_e32 v40, v30, v28
	v_sub_f16_e32 v39, v18, v16
	v_sub_f16_e32 v16, v16, v20
	v_sub_f16_e32 v18, v20, v18
	v_add_f16_e32 v5, v26, v5
	v_sub_f16_e32 v26, v21, v19
	v_sub_f16_e32 v21, v17, v21
	;; [unrolled: 1-line block ×6, first 2 shown]
	v_add_f16_e32 v20, v20, v38
	v_add_f16_e32 v17, v22, v17
	v_fmamk_f16 v6, v6, 0x2b26, v4
	v_fma_f16 v22, v23, 0x39e0, -v34
	v_fma_f16 v4, v23, 0xb9e0, -v4
	;; [unrolled: 1-line block ×3, first 2 shown]
	v_fmamk_f16 v23, v9, 0xb574, v27
	v_add_f16_e32 v27, v42, v29
	v_fmamk_f16 v12, v12, 0x2b26, v10
	v_fma_f16 v29, v35, 0x39e0, -v44
	v_fma_f16 v10, v35, 0xb9e0, -v10
	;; [unrolled: 1-line block ×3, first 2 shown]
	v_fmamk_f16 v34, v15, 0xb574, v37
	v_fmac_f16_e32 v45, 0x3574, v15
	s_waitcnt lgkmcnt(0)
	v_add_f16_sdwa v35, v0, v8 dst_sel:DWORD dst_unused:UNUSED_PAD src0_sel:WORD_1 src1_sel:DWORD
	v_add_f16_sdwa v37, v1, v14 dst_sel:DWORD dst_unused:UNUSED_PAD src0_sel:WORD_1 src1_sel:DWORD
	v_sub_f16_e32 v41, v30, v28
	v_sub_f16_e32 v28, v28, v32
	;; [unrolled: 1-line block ×3, first 2 shown]
	v_fmac_f16_e32 v36, 0x3574, v9
	v_add_f16_e32 v9, v32, v40
	v_mul_f16_e32 v16, 0x3a52, v16
	v_mul_f16_e32 v32, 0x2b26, v18
	;; [unrolled: 1-line block ×4, first 2 shown]
	v_add_f16_e32 v0, v0, v20
	v_fmamk_f16 v8, v8, 0xbcab, v35
	v_fmac_f16_e32 v34, 0xb70e, v11
	v_fmac_f16_e32 v13, 0xb70e, v11
	;; [unrolled: 1-line block ×3, first 2 shown]
	v_fmamk_f16 v11, v14, 0xbcab, v37
	v_mul_f16_e32 v28, 0x3a52, v28
	v_mul_f16_e32 v38, 0x2b26, v30
	;; [unrolled: 1-line block ×4, first 2 shown]
	v_add_f16_e32 v1, v1, v9
	v_fmamk_f16 v18, v18, 0x2b26, v16
	v_fma_f16 v32, v39, 0x39e0, -v32
	v_fma_f16 v19, v19, 0xbb00, -v26
	v_fmamk_f16 v26, v21, 0xb574, v26
	v_fmac_f16_e32 v15, 0x3574, v21
	v_add_f16_e32 v6, v6, v8
	v_add_f16_e32 v14, v22, v8
	;; [unrolled: 1-line block ×6, first 2 shown]
	v_fmamk_f16 v11, v20, 0xbcab, v0
	v_fma_f16 v16, v39, 0xb9e0, -v16
	v_fmac_f16_e32 v23, 0xb70e, v5
	v_fmac_f16_e32 v7, 0xb70e, v5
	;; [unrolled: 1-line block ×3, first 2 shown]
	v_fmamk_f16 v5, v30, 0x2b26, v28
	v_fma_f16 v21, v41, 0x39e0, -v38
	v_fma_f16 v28, v41, 0xb9e0, -v28
	;; [unrolled: 1-line block ×3, first 2 shown]
	v_fmamk_f16 v31, v33, 0xb574, v40
	v_fmac_f16_e32 v42, 0x3574, v33
	v_fmamk_f16 v9, v9, 0xbcab, v1
	v_fmac_f16_e32 v26, 0xb70e, v17
	v_fmac_f16_e32 v19, 0xb70e, v17
	;; [unrolled: 1-line block ×3, first 2 shown]
	v_add_f16_e32 v17, v18, v11
	v_add_f16_e32 v18, v32, v11
	;; [unrolled: 1-line block ×3, first 2 shown]
	v_fmac_f16_e32 v31, 0xb70e, v27
	v_fmac_f16_e32 v42, 0xb70e, v27
	v_add_f16_e32 v5, v5, v9
	v_add_f16_e32 v20, v21, v9
	;; [unrolled: 1-line block ×3, first 2 shown]
	v_fmac_f16_e32 v30, 0xb70e, v27
	v_add_f16_e32 v16, v19, v14
	v_sub_f16_e32 v14, v14, v19
	v_sub_f16_e32 v28, v18, v7
	v_add_f16_e32 v7, v7, v18
	v_sub_f16_e32 v19, v4, v15
	v_add_f16_e32 v4, v15, v4
	v_add_f16_e32 v18, v36, v11
	v_sub_f16_e32 v11, v11, v36
	v_sub_f16_e32 v15, v6, v26
	v_add_f16_e32 v6, v26, v6
	v_add_f16_e32 v27, v23, v17
	v_sub_f16_e32 v17, v17, v23
	v_sub_f16_e32 v21, v8, v31
	;; [unrolled: 1-line block ×3, first 2 shown]
	v_add_f16_e32 v10, v42, v10
	v_add_f16_e32 v23, v34, v5
	v_sub_f16_e32 v29, v20, v13
	v_add_f16_e32 v13, v13, v20
	v_add_f16_e32 v20, v45, v9
	v_sub_f16_e32 v9, v9, v45
	v_add_f16_e32 v22, v30, v12
	v_sub_f16_e32 v12, v12, v30
	;; [unrolled: 2-line block ×3, first 2 shown]
	v_pack_b32_f16 v7, v7, v14
	v_pack_b32_f16 v4, v11, v4
	v_pack_b32_f16 v6, v17, v6
	v_pack_b32_f16 v0, v0, v35
	v_pack_b32_f16 v1, v1, v37
	v_pack_b32_f16 v15, v27, v15
	v_pack_b32_f16 v11, v23, v21
	v_pack_b32_f16 v9, v9, v10
	v_pack_b32_f16 v18, v18, v19
	v_pack_b32_f16 v16, v28, v16
	v_pack_b32_f16 v14, v20, v26
	v_pack_b32_f16 v17, v29, v22
	v_pack_b32_f16 v12, v13, v12
	v_pack_b32_f16 v5, v5, v8
	ds_write_b32 v65, v7 offset:3136
	ds_write_b32 v65, v4 offset:3920
	;; [unrolled: 1-line block ×3, first 2 shown]
	ds_write2_b32 v65, v0, v1 offset1:98
	ds_write2_b32 v66, v15, v11 offset0:68 offset1:166
	ds_write2_b32 v55, v18, v14 offset0:136 offset1:234
	;; [unrolled: 1-line block ×3, first 2 shown]
	ds_write_b32 v65, v12 offset:3528
	ds_write_b32 v65, v9 offset:4312
	;; [unrolled: 1-line block ×3, first 2 shown]
	s_waitcnt lgkmcnt(0)
	s_barrier
	buffer_gl0_inv
	ds_read2_b32 v[9:10], v65 offset1:98
	ds_read2_b32 v[0:1], v68 offset0:76 offset1:174
	ds_read2_b32 v[11:12], v67 offset0:16 offset1:114
	;; [unrolled: 1-line block ×3, first 2 shown]
	v_add_co_u32 v4, vcc_lo, s4, v24
	v_add_co_ci_u32_e32 v6, vcc_lo, s5, v25, vcc_lo
	v_add_co_u32 v5, vcc_lo, v4, v2
	v_add_co_ci_u32_e32 v6, vcc_lo, v6, v3, vcc_lo
	;; [unrolled: 2-line block ×3, first 2 shown]
	s_waitcnt lgkmcnt(3)
	v_lshrrev_b32_e32 v2, 16, v9
	s_waitcnt lgkmcnt(2)
	v_lshrrev_b32_e32 v3, 16, v1
	v_mul_f16_sdwa v4, v58, v1 dst_sel:DWORD dst_unused:UNUSED_PAD src0_sel:WORD_1 src1_sel:DWORD
	v_lshrrev_b32_e32 v15, 16, v10
	v_mul_f16_sdwa v16, v56, v10 dst_sel:DWORD dst_unused:UNUSED_PAD src0_sel:WORD_1 src1_sel:DWORD
	s_waitcnt lgkmcnt(0)
	v_lshrrev_b32_e32 v19, 16, v13
	v_mul_f16_sdwa v20, v61, v13 dst_sel:DWORD dst_unused:UNUSED_PAD src0_sel:WORD_1 src1_sel:DWORD
	v_mul_f16_sdwa v23, v57, v9 dst_sel:DWORD dst_unused:UNUSED_PAD src0_sel:WORD_1 src1_sel:DWORD
	v_fma_f16 v4, v58, v3, -v4
	v_lshrrev_b32_e32 v17, 16, v11
	v_mul_f16_sdwa v18, v59, v11 dst_sel:DWORD dst_unused:UNUSED_PAD src0_sel:WORD_1 src1_sel:DWORD
	v_mul_f16_sdwa v26, v57, v2 dst_sel:DWORD dst_unused:UNUSED_PAD src0_sel:WORD_1 src1_sel:DWORD
	;; [unrolled: 1-line block ×3, first 2 shown]
	v_fma_f16 v3, v56, v15, -v16
	v_fma_f16 v16, v61, v19, -v20
	;; [unrolled: 1-line block ×3, first 2 shown]
	v_cvt_f32_f16_e32 v2, v4
	v_mul_f16_sdwa v28, v56, v15 dst_sel:DWORD dst_unused:UNUSED_PAD src0_sel:WORD_1 src1_sel:DWORD
	v_fma_f16 v15, v59, v17, -v18
	v_cvt_f32_f16_e32 v3, v3
	v_fmac_f16_e32 v27, v58, v1
	v_cvt_f64_f32_e32 v[1:2], v2
	v_lshrrev_b32_e32 v21, 16, v12
	v_mul_f16_sdwa v22, v62, v12 dst_sel:DWORD dst_unused:UNUSED_PAD src0_sel:WORD_1 src1_sel:DWORD
	v_fmac_f16_e32 v26, v57, v9
	v_cvt_f32_f16_e32 v9, v15
	v_cvt_f64_f32_e32 v[3:4], v3
	v_lshrrev_b32_e32 v24, 16, v14
	v_fma_f16 v18, v62, v21, -v22
	v_mul_f16_sdwa v21, v62, v21 dst_sel:DWORD dst_unused:UNUSED_PAD src0_sel:WORD_1 src1_sel:DWORD
	v_mul_f16_sdwa v17, v59, v17 dst_sel:DWORD dst_unused:UNUSED_PAD src0_sel:WORD_1 src1_sel:DWORD
	v_fmac_f16_e32 v28, v56, v10
	v_cvt_f32_f16_e32 v15, v16
	v_cvt_f64_f32_e32 v[9:10], v9
	v_mul_f16_sdwa v19, v61, v19 dst_sel:DWORD dst_unused:UNUSED_PAD src0_sel:WORD_1 src1_sel:DWORD
	v_mul_f16_sdwa v22, v60, v24 dst_sel:DWORD dst_unused:UNUSED_PAD src0_sel:WORD_1 src1_sel:DWORD
	v_fmac_f16_e32 v21, v62, v12
	v_cvt_f32_f16_e32 v16, v18
	v_fmac_f16_e32 v17, v59, v11
	v_cvt_f64_f32_e32 v[11:12], v15
	v_fmac_f16_e32 v19, v61, v13
	v_fmac_f16_e32 v22, v60, v14
	v_cvt_f32_f16_e32 v13, v20
	v_cvt_f32_f16_e32 v31, v21
	v_cvt_f64_f32_e32 v[15:16], v16
	v_mul_f16_sdwa v25, v60, v14 dst_sel:DWORD dst_unused:UNUSED_PAD src0_sel:WORD_1 src1_sel:DWORD
	v_cvt_f32_f16_e32 v29, v19
	v_cvt_f64_f32_e32 v[19:20], v13
	v_cvt_f32_f16_e32 v13, v22
	v_cvt_f64_f32_e32 v[31:32], v31
	v_mul_f64 v[35:36], v[1:2], s[22:23]
	v_cvt_f32_f16_e32 v14, v26
	v_fma_f16 v39, v60, v24, -v25
	v_cvt_f32_f16_e32 v17, v17
	v_cvt_f64_f32_e32 v[33:34], v13
	v_mul_f64 v[37:38], v[3:4], s[22:23]
	v_cvt_f32_f16_e32 v18, v27
	v_cvt_f64_f32_e32 v[21:22], v14
	v_cvt_f32_f16_e32 v25, v28
	v_cvt_f64_f32_e32 v[27:28], v17
	v_cvt_f32_f16_e32 v17, v39
	v_mul_f64 v[39:40], v[9:10], s[22:23]
	v_cvt_f64_f32_e32 v[23:24], v18
	v_mul_f64 v[41:42], v[11:12], s[22:23]
	v_cvt_f64_f32_e32 v[25:26], v25
	v_add_co_u32 v13, vcc_lo, v7, s24
	v_mul_f64 v[11:12], v[15:16], s[22:23]
	v_add_co_ci_u32_e32 v14, vcc_lo, s26, v8, vcc_lo
	v_add_co_u32 v3, vcc_lo, v13, s21
	v_mul_f64 v[15:16], v[31:32], s[22:23]
	v_and_or_b32 v31, 0x1ff, v36, v35
	v_mul_f64 v[19:20], v[19:20], s[22:23]
	v_add_co_ci_u32_e32 v4, vcc_lo, s25, v14, vcc_lo
	v_mul_f64 v[9:10], v[33:34], s[22:23]
	v_and_or_b32 v34, 0x1ff, v38, v37
	v_cmp_ne_u32_e32 vcc_lo, 0, v31
	v_cvt_f64_f32_e32 v[29:30], v29
	v_mul_f64 v[21:22], v[21:22], s[22:23]
	v_mul_f64 v[27:28], v[27:28], s[22:23]
	v_and_or_b32 v39, 0x1ff, v40, v39
	v_cndmask_b32_e64 v31, 0, 1, vcc_lo
	v_cmp_ne_u32_e32 vcc_lo, 0, v34
	v_mul_f64 v[23:24], v[23:24], s[22:23]
	v_and_or_b32 v41, 0x1ff, v42, v41
	v_mul_f64 v[25:26], v[25:26], s[22:23]
	v_and_or_b32 v56, 0x1ff, v12, v11
	v_cndmask_b32_e64 v34, 0, 1, vcc_lo
	v_cmp_ne_u32_e32 vcc_lo, 0, v39
	v_lshrrev_b32_e32 v32, 8, v36
	v_lshrrev_b32_e32 v35, 8, v38
	v_and_or_b32 v15, 0x1ff, v16, v15
	v_lshrrev_b32_e32 v43, 8, v40
	v_cndmask_b32_e64 v39, 0, 1, vcc_lo
	v_cmp_ne_u32_e32 vcc_lo, 0, v41
	v_and_or_b32 v19, 0x1ff, v20, v19
	v_and_or_b32 v78, 0x1ff, v10, v9
	v_bfe_u32 v44, v40, 20, 11
	v_lshrrev_b32_e32 v45, 8, v42
	v_cndmask_b32_e64 v41, 0, 1, vcc_lo
	v_cmp_ne_u32_e32 vcc_lo, 0, v56
	v_mul_f64 v[29:30], v[29:30], s[22:23]
	v_and_or_b32 v21, 0x1ff, v22, v21
	v_and_or_b32 v27, 0x1ff, v28, v27
	v_lshrrev_b32_e32 v58, 8, v20
	v_cndmask_b32_e64 v56, 0, 1, vcc_lo
	v_cmp_ne_u32_e32 vcc_lo, 0, v19
	v_and_or_b32 v23, 0x1ff, v24, v23
	v_and_or_b32 v25, 0x1ff, v26, v25
	v_bfe_u32 v70, v26, 20, 11
	v_and_or_b32 v31, 0xffe, v32, v31
	v_cndmask_b32_e64 v19, 0, 1, vcc_lo
	v_cmp_ne_u32_e32 vcc_lo, 0, v21
	v_and_or_b32 v32, 0xffe, v35, v34
	v_and_or_b32 v34, 0xffe, v43, v39
	ds_read2_b32 v[1:2], v64 offset0:84 offset1:182
	v_lshrrev_b32_e32 v57, 8, v12
	v_cndmask_b32_e64 v21, 0, 1, vcc_lo
	v_cmp_ne_u32_e32 vcc_lo, 0, v23
	v_bfe_u32 v59, v20, 20, 11
	v_sub_nc_u32_e32 v64, 0x3f1, v44
	v_add_nc_u32_e32 v44, 0xfffffc10, v44
	v_sub_nc_u32_e32 v82, 0x3f1, v70
	v_cndmask_b32_e64 v23, 0, 1, vcc_lo
	v_cmp_ne_u32_e32 vcc_lo, 0, v25
	v_and_or_b32 v29, 0x1ff, v30, v29
	v_lshrrev_b32_e32 v73, 8, v30
	v_and_or_b32 v35, 0xffe, v45, v41
	v_and_or_b32 v19, 0xffe, v58, v19
	v_cndmask_b32_e64 v25, 0, 1, vcc_lo
	v_cmp_ne_u32_e32 vcc_lo, 0, v27
	v_bfe_u32 v33, v36, 20, 11
	v_lshrrev_b32_e32 v60, 8, v22
	v_bfe_u32 v61, v22, 20, 11
	v_lshrrev_b32_e32 v67, 8, v24
	v_cndmask_b32_e64 v27, 0, 1, vcc_lo
	v_cmp_ne_u32_e32 vcc_lo, 0, v29
	v_sub_nc_u32_e32 v77, 0x3f1, v59
	v_add_nc_u32_e32 v59, 0xfffffc10, v59
	v_and_or_b32 v39, 0xffe, v57, v56
	v_med3_i32 v56, v82, 0, 13
	v_cndmask_b32_e64 v29, 0, 1, vcc_lo
	v_cmp_ne_u32_e32 vcc_lo, 0, v15
	v_or_b32_e32 v82, 0x1000, v34
	v_bfe_u32 v37, v38, 20, 11
	v_sub_nc_u32_e32 v62, 0x3f1, v33
	v_and_or_b32 v29, 0xffe, v73, v29
	v_cndmask_b32_e64 v15, 0, 1, vcc_lo
	v_cmp_ne_u32_e32 vcc_lo, 0, v78
	v_lshl_or_b32 v73, v44, 12, v34
	v_bfe_u32 v68, v24, 20, 11
	v_lshrrev_b32_e32 v69, 8, v26
	v_add_nc_u32_e32 v33, 0xfffffc10, v33
	v_cndmask_b32_e64 v41, 0, 1, vcc_lo
	v_cmp_ne_u32_e32 vcc_lo, 0, v34
	v_sub_nc_u32_e32 v80, 0x3f1, v61
	v_and_or_b32 v21, 0xffe, v60, v21
	v_and_or_b32 v23, 0xffe, v67, v23
	v_or_b32_e32 v60, 0x1000, v19
	v_cndmask_b32_e64 v34, 0, 1, vcc_lo
	v_cmp_ne_u32_e32 vcc_lo, 0, v19
	v_lshl_or_b32 v67, v59, 12, v19
	v_bfe_u32 v46, v42, 20, 11
	v_sub_nc_u32_e32 v63, 0x3f1, v37
	v_lshrrev_b32_e32 v71, 8, v28
	v_cndmask_b32_e64 v19, 0, 1, vcc_lo
	v_cmp_ne_u32_e32 vcc_lo, 0, v31
	v_bfe_u32 v72, v28, 20, 11
	v_add_nc_u32_e32 v37, 0xfffffc10, v37
	v_sub_nc_u32_e32 v81, 0x3f1, v68
	v_med3_i32 v43, v80, 0, 13
	v_or_b32_e32 v80, 0x1000, v31
	v_and_or_b32 v25, 0xffe, v69, v25
	v_lshl_or_b32 v69, v33, 12, v31
	v_cndmask_b32_e64 v31, 0, 1, vcc_lo
	v_cmp_ne_u32_e32 vcc_lo, 0, v32
	v_sub_nc_u32_e32 v65, 0x3f1, v46
	v_lshrrev_b32_e32 v75, 8, v16
	v_add_nc_u32_e32 v46, 0xfffffc10, v46
	v_sub_nc_u32_e32 v83, 0x3f1, v72
	v_med3_i32 v45, v81, 0, 13
	v_or_b32_e32 v81, 0x1000, v32
	v_and_or_b32 v27, 0xffe, v71, v27
	v_lshl_or_b32 v71, v37, 12, v32
	v_cndmask_b32_e64 v32, 0, 1, vcc_lo
	v_cmp_ne_u32_e32 vcc_lo, 0, v35
	v_add_nc_u32_e32 v68, 0xfffffc10, v68
	v_med3_i32 v57, v83, 0, 13
	v_or_b32_e32 v83, 0x1000, v35
	v_and_or_b32 v15, 0xffe, v75, v15
	v_lshl_or_b32 v75, v46, 12, v35
	v_cndmask_b32_e64 v35, 0, 1, vcc_lo
	v_cmp_ne_u32_e32 vcc_lo, 0, v23
	v_add_nc_u32_e32 v61, 0xfffffc10, v61
	v_or_b32_e32 v91, 0x1000, v23
	v_lshl_or_b32 v98, v68, 12, v23
	v_add_nc_u32_e32 v70, 0xfffffc10, v70
	v_cndmask_b32_e64 v23, 0, 1, vcc_lo
	v_cmp_ne_u32_e32 vcc_lo, 0, v21
	v_or_b32_e32 v90, 0x1000, v21
	v_lshl_or_b32 v97, v61, 12, v21
	v_bfe_u32 v74, v30, 20, 11
	v_med3_i32 v77, v77, 0, 13
	v_cndmask_b32_e64 v21, 0, 1, vcc_lo
	v_cmp_ne_u32_e32 vcc_lo, 0, v25
	v_add_nc_u32_e32 v72, 0xfffffc10, v72
	v_or_b32_e32 v92, 0x1000, v25
	v_lshl_or_b32 v99, v70, 12, v25
	v_bfe_u32 v76, v16, 20, 11
	v_cndmask_b32_e64 v25, 0, 1, vcc_lo
	v_cmp_ne_u32_e32 vcc_lo, 0, v27
	v_lshrrev_b32_e32 v79, 8, v10
	v_med3_i32 v62, v62, 0, 13
	v_sub_nc_u32_e32 v84, 0x3f1, v74
	v_add_nc_u32_e32 v74, 0xfffffc10, v74
	v_or_b32_e32 v93, 0x1000, v27
	v_lshrrev_b32_e32 v96, v77, v60
	v_lshl_or_b32 v100, v72, 12, v27
	v_cndmask_b32_e64 v27, 0, 1, vcc_lo
	v_cmp_ne_u32_e32 vcc_lo, 0, v29
	v_med3_i32 v63, v63, 0, 13
	v_sub_nc_u32_e32 v85, 0x3f1, v76
	v_add_nc_u32_e32 v76, 0xfffffc10, v76
	v_and_or_b32 v41, 0xffe, v79, v41
	v_lshrrev_b32_e32 v79, v62, v80
	v_or_b32_e32 v94, 0x1000, v29
	v_lshl_or_b32 v101, v74, 12, v29
	v_cndmask_b32_e64 v29, 0, 1, vcc_lo
	v_cmp_ne_u32_e32 vcc_lo, 0, v15
	v_lshlrev_b32_e32 v77, v77, v96
	v_bfe_u32 v11, v12, 20, 11
	v_med3_i32 v64, v64, 0, 13
	v_lshrrev_b32_e32 v86, v63, v81
	v_or_b32_e32 v95, 0x1000, v15
	v_lshl_or_b32 v102, v76, 12, v15
	v_cndmask_b32_e64 v15, 0, 1, vcc_lo
	v_lshlrev_b32_e32 v62, v62, v79
	v_cmp_ne_u32_e32 vcc_lo, v77, v60
	v_sub_nc_u32_e32 v66, 0x3f1, v11
	v_med3_i32 v65, v65, 0, 13
	v_lshrrev_b32_e32 v87, v64, v82
	v_lshlrev_b32_e32 v63, v63, v86
	v_cndmask_b32_e64 v60, 0, 1, vcc_lo
	v_cmp_ne_u32_e32 vcc_lo, v62, v80
	v_med3_i32 v66, v66, 0, 13
	v_med3_i32 v58, v84, 0, 13
	v_or_b32_e32 v84, 0x1000, v39
	v_lshrrev_b32_e32 v88, v65, v83
	v_lshlrev_b32_e32 v64, v64, v87
	v_cndmask_b32_e64 v62, 0, 1, vcc_lo
	v_cmp_ne_u32_e32 vcc_lo, v63, v81
	v_lshrrev_b32_e32 v89, v66, v84
	v_lshlrev_b32_e32 v65, v65, v88
	v_lshrrev_b32_e32 v103, v43, v90
	v_lshrrev_b32_e32 v104, v45, v91
	v_cndmask_b32_e64 v63, 0, 1, vcc_lo
	v_cmp_ne_u32_e32 vcc_lo, v64, v82
	v_lshlrev_b32_e32 v66, v66, v89
	v_lshlrev_b32_e32 v43, v43, v103
	v_lshrrev_b32_e32 v105, v56, v92
	v_lshlrev_b32_e32 v45, v45, v104
	v_cndmask_b32_e64 v64, 0, 1, vcc_lo
	v_cmp_ne_u32_e32 vcc_lo, v65, v83
	v_lshrrev_b32_e32 v106, v57, v93
	v_lshlrev_b32_e32 v56, v56, v105
	v_med3_i32 v78, v85, 0, 13
	v_lshrrev_b32_e32 v107, v58, v94
	v_cndmask_b32_e64 v65, 0, 1, vcc_lo
	v_cmp_ne_u32_e32 vcc_lo, v66, v84
	v_lshlrev_b32_e32 v57, v57, v106
	v_lshrrev_b32_e32 v108, v78, v95
	v_lshlrev_b32_e32 v58, v58, v107
	v_or_b32_e32 v60, v96, v60
	v_cndmask_b32_e64 v66, 0, 1, vcc_lo
	v_cmp_ne_u32_e32 vcc_lo, v43, v90
	v_lshlrev_b32_e32 v78, v78, v108
	v_or_b32_e32 v62, v79, v62
	v_or_b32_e32 v63, v86, v63
	;; [unrolled: 1-line block ×3, first 2 shown]
	v_cndmask_b32_e64 v43, 0, 1, vcc_lo
	v_cmp_ne_u32_e32 vcc_lo, v45, v91
	v_add_nc_u32_e32 v11, 0xfffffc10, v11
	v_or_b32_e32 v65, v88, v65
	v_or_b32_e32 v66, v89, v66
	;; [unrolled: 1-line block ×3, first 2 shown]
	v_cndmask_b32_e64 v45, 0, 1, vcc_lo
	v_cmp_ne_u32_e32 vcc_lo, v56, v92
	v_lshl_or_b32 v85, v11, 12, v39
	v_lshl_or_b32 v19, v19, 9, 0x7c00
	;; [unrolled: 1-line block ×3, first 2 shown]
	v_or_b32_e32 v45, v104, v45
	v_cndmask_b32_e64 v56, 0, 1, vcc_lo
	v_cmp_ne_u32_e32 vcc_lo, v57, v93
	v_lshl_or_b32 v32, v32, 9, 0x7c00
	v_lshl_or_b32 v34, v34, 9, 0x7c00
	;; [unrolled: 1-line block ×3, first 2 shown]
	v_or_b32_e32 v56, v105, v56
	v_cndmask_b32_e64 v57, 0, 1, vcc_lo
	v_cmp_ne_u32_e32 vcc_lo, v58, v94
	v_lshl_or_b32 v21, v21, 9, 0x7c00
	v_lshrrev_b32_e32 v20, 16, v20
	v_lshl_or_b32 v23, v23, 9, 0x7c00
	v_or_b32_e32 v57, v106, v57
	v_cndmask_b32_e64 v58, 0, 1, vcc_lo
	v_cmp_ne_u32_e32 vcc_lo, v78, v95
	v_lshl_or_b32 v25, v25, 9, 0x7c00
	v_cvt_f64_f32_e32 v[17:18], v17
	v_lshl_or_b32 v27, v27, 9, 0x7c00
	v_or_b32_e32 v58, v107, v58
	v_cndmask_b32_e64 v77, 0, 1, vcc_lo
	v_cmp_gt_i32_e32 vcc_lo, 1, v59
	v_lshrrev_b32_e32 v22, 16, v22
	v_lshrrev_b32_e32 v24, 16, v24
	;; [unrolled: 1-line block ×4, first 2 shown]
	v_cndmask_b32_e32 v60, v67, v60, vcc_lo
	v_cmp_gt_i32_e32 vcc_lo, 1, v33
	v_or_b32_e32 v67, v108, v77
	v_lshrrev_b32_e32 v36, 16, v36
	v_lshrrev_b32_e32 v38, 16, v38
	;; [unrolled: 1-line block ×3, first 2 shown]
	v_cndmask_b32_e32 v62, v69, v62, vcc_lo
	v_cmp_gt_i32_e32 vcc_lo, 1, v37
	v_and_b32_e32 v69, 7, v60
	v_lshrrev_b32_e32 v60, 2, v60
	v_bfe_u32 v9, v10, 20, 11
	v_lshl_or_b32 v29, v29, 9, 0x7c00
	v_cndmask_b32_e32 v63, v71, v63, vcc_lo
	v_cmp_gt_i32_e32 vcc_lo, 1, v44
	v_and_b32_e32 v71, 7, v62
	v_cmp_eq_u32_e64 s0, 3, v69
	v_lshrrev_b32_e32 v62, 2, v62
	v_mul_f64 v[17:18], v[17:18], s[22:23]
	v_cndmask_b32_e32 v64, v73, v64, vcc_lo
	v_cmp_gt_i32_e32 vcc_lo, 1, v46
	v_and_b32_e32 v73, 7, v63
	v_cmp_lt_i32_e64 s1, 5, v71
	v_cmp_eq_u32_e64 s2, 3, v71
	v_lshrrev_b32_e32 v63, 2, v63
	v_cndmask_b32_e32 v65, v75, v65, vcc_lo
	v_cmp_gt_i32_e32 vcc_lo, 1, v11
	v_and_b32_e32 v75, 7, v64
	v_cmp_lt_i32_e64 s3, 5, v73
	v_cmp_eq_u32_e64 s4, 3, v73
	v_and_b32_e32 v77, 7, v65
	v_cndmask_b32_e32 v66, v85, v66, vcc_lo
	v_cmp_gt_i32_e32 vcc_lo, 1, v61
	v_cmp_lt_i32_e64 s5, 5, v75
	v_cmp_eq_u32_e64 s6, 3, v75
	v_cmp_lt_i32_e64 s7, 5, v77
	v_cmp_eq_u32_e64 s8, 3, v77
	v_cndmask_b32_e32 v43, v97, v43, vcc_lo
	v_cmp_gt_i32_e32 vcc_lo, 1, v68
	v_lshrrev_b32_e32 v65, 2, v65
	v_lshrrev_b32_e32 v64, 2, v64
	s_or_b32 s5, s6, s5
	v_lshrrev_b32_e32 v30, 16, v30
	v_cndmask_b32_e32 v45, v98, v45, vcc_lo
	v_cmp_gt_i32_e32 vcc_lo, 1, v70
	v_add_co_ci_u32_e64 v64, s5, 0, v64, s5
	v_and_or_b32 v17, 0x1ff, v18, v17
	v_and_b32_e32 v71, 7, v45
	v_cndmask_b32_e32 v56, v99, v56, vcc_lo
	v_cmp_gt_i32_e32 vcc_lo, 1, v72
	v_lshrrev_b32_e32 v45, 2, v45
	v_lshrrev_b32_e32 v42, 16, v42
	v_cmp_lt_i32_e64 s11, 5, v71
	v_cmp_eq_u32_e64 s12, 3, v71
	v_cndmask_b32_e32 v57, v100, v57, vcc_lo
	v_cmp_gt_i32_e32 vcc_lo, 1, v74
	v_and_b32_e32 v73, 7, v56
	v_lshrrev_b32_e32 v56, 2, v56
	v_and_b32_e32 v75, 7, v57
	v_cndmask_b32_e32 v58, v101, v58, vcc_lo
	v_cmp_gt_i32_e32 vcc_lo, 1, v76
	v_cmp_lt_i32_e64 s13, 5, v73
	v_cmp_eq_u32_e64 s14, 3, v73
	v_cmp_lt_i32_e64 s15, 5, v75
	v_and_b32_e32 v77, 7, v58
	v_cndmask_b32_e32 v67, v102, v67, vcc_lo
	v_cmp_lt_i32_e32 vcc_lo, 5, v69
	v_and_b32_e32 v69, 7, v43
	v_lshrrev_b32_e32 v43, 2, v43
	v_cmp_eq_u32_e64 s16, 3, v75
	v_and_b32_e32 v78, 7, v67
	s_or_b32 vcc_lo, s0, vcc_lo
	v_cmp_lt_i32_e64 s9, 5, v69
	v_add_co_ci_u32_e32 v60, vcc_lo, 0, v60, vcc_lo
	s_or_b32 vcc_lo, s2, s1
	v_cmp_eq_u32_e64 s10, 3, v69
	v_add_co_ci_u32_e32 v62, vcc_lo, 0, v62, vcc_lo
	s_or_b32 vcc_lo, s4, s3
	v_lshrrev_b32_e32 v57, 2, v57
	v_add_co_ci_u32_e32 v63, vcc_lo, 0, v63, vcc_lo
	s_or_b32 vcc_lo, s8, s7
	v_cmp_lt_i32_e64 s17, 5, v77
	v_add_co_ci_u32_e32 v65, vcc_lo, 0, v65, vcc_lo
	v_cmp_gt_i32_e32 vcc_lo, 31, v44
	v_cmp_eq_u32_e64 s18, 3, v77
	v_lshrrev_b32_e32 v58, 2, v58
	v_cmp_lt_i32_e64 s19, 5, v78
	v_cmp_eq_u32_e64 s20, 3, v78
	v_cndmask_b32_e32 v64, 0x7c00, v64, vcc_lo
	v_cmp_gt_i32_e32 vcc_lo, 31, v59
	v_lshrrev_b32_e32 v67, 2, v67
	v_cmp_eq_u32_e64 s1, 0x40f, v76
	v_cndmask_b32_e32 v60, 0x7c00, v60, vcc_lo
	s_or_b32 vcc_lo, s12, s11
	v_add_co_ci_u32_e32 v45, vcc_lo, 0, v45, vcc_lo
	v_cmp_gt_i32_e32 vcc_lo, 31, v33
	v_cndmask_b32_e32 v62, 0x7c00, v62, vcc_lo
	v_cmp_gt_i32_e32 vcc_lo, 31, v37
	v_cndmask_b32_e32 v63, 0x7c00, v63, vcc_lo
	s_or_b32 vcc_lo, s10, s9
	v_add_co_ci_u32_e32 v43, vcc_lo, 0, v43, vcc_lo
	v_cmp_gt_i32_e32 vcc_lo, 31, v46
	v_cndmask_b32_e32 v65, 0x7c00, v65, vcc_lo
	s_or_b32 vcc_lo, s14, s13
	v_add_co_ci_u32_e32 v56, vcc_lo, 0, v56, vcc_lo
	s_or_b32 vcc_lo, s16, s15
	v_add_co_ci_u32_e32 v57, vcc_lo, 0, v57, vcc_lo
	s_or_b32 vcc_lo, s18, s17
	v_add_co_ci_u32_e32 v58, vcc_lo, 0, v58, vcc_lo
	s_or_b32 vcc_lo, s20, s19
	v_add_co_ci_u32_e32 v67, vcc_lo, 0, v67, vcc_lo
	v_cmp_eq_u32_e32 vcc_lo, 0x40f, v59
	v_cndmask_b32_e32 v19, v60, v19, vcc_lo
	v_cmp_gt_i32_e32 vcc_lo, 31, v68
	v_and_or_b32 v19, 0x8000, v20, v19
	v_cndmask_b32_e32 v45, 0x7c00, v45, vcc_lo
	v_cmp_eq_u32_e32 vcc_lo, 0x40f, v33
	v_cndmask_b32_e32 v31, v62, v31, vcc_lo
	v_cmp_eq_u32_e32 vcc_lo, 0x40f, v37
	;; [unrolled: 2-line block ×3, first 2 shown]
	v_cndmask_b32_e32 v33, v64, v34, vcc_lo
	v_cmp_gt_i32_e32 vcc_lo, 31, v61
	v_cndmask_b32_e32 v34, 0x7c00, v43, vcc_lo
	v_cmp_eq_u32_e32 vcc_lo, 0x40f, v46
	v_cndmask_b32_e32 v35, v65, v35, vcc_lo
	v_cmp_gt_i32_e32 vcc_lo, 31, v70
	v_cndmask_b32_e32 v37, 0x7c00, v56, vcc_lo
	v_cmp_gt_i32_e32 vcc_lo, 31, v72
	;; [unrolled: 2-line block ×4, first 2 shown]
	v_cndmask_b32_e32 v46, 0x7c00, v67, vcc_lo
	v_cmp_eq_u32_e32 vcc_lo, 0x40f, v61
	v_cndmask_b32_e32 v21, v34, v21, vcc_lo
	v_cmp_eq_u32_e32 vcc_lo, 0x40f, v68
	v_and_or_b32 v21, 0x8000, v22, v21
	v_cndmask_b32_e32 v20, v45, v23, vcc_lo
	v_cmp_eq_u32_e32 vcc_lo, 0x40f, v70
	v_and_or_b32 v23, 0x8000, v36, v31
	v_and_or_b32 v31, 0x8000, v38, v32
	v_and_b32_e32 v21, 0xffff, v21
	v_and_or_b32 v20, 0x8000, v24, v20
	v_cndmask_b32_e32 v25, v37, v25, vcc_lo
	v_cmp_eq_u32_e32 vcc_lo, 0x40f, v72
	v_and_or_b32 v32, 0x8000, v40, v33
	v_lshl_or_b32 v19, v19, 16, v21
	v_and_b32_e32 v20, 0xffff, v20
	v_and_or_b32 v22, 0x8000, v26, v25
	v_cndmask_b32_e32 v27, v43, v27, vcc_lo
	v_cmp_eq_u32_e32 vcc_lo, 0x40f, v74
	v_and_or_b32 v33, 0x8000, v42, v35
	v_lshl_or_b32 v20, v23, 16, v20
	v_and_b32_e32 v22, 0xffff, v22
	v_and_or_b32 v24, 0x8000, v28, v27
	global_store_dword v[5:6], v19, off
	global_store_dword v[7:8], v20, off
	v_and_b32_e32 v5, 7, v66
	v_lshl_or_b32 v21, v31, 16, v22
	v_and_b32_e32 v24, 0xffff, v24
	v_or_b32_e32 v6, 0x1000, v41
	v_lshl_or_b32 v8, v15, 9, 0x7c00
	v_cndmask_b32_e32 v29, v44, v29, vcc_lo
	v_cmp_lt_i32_e32 vcc_lo, 5, v5
	v_lshl_or_b32 v22, v32, 16, v24
	v_sub_nc_u32_e32 v24, 0x3f1, v9
	v_cmp_eq_u32_e64 s0, 3, v5
	global_store_dword v[13:14], v21, off
	s_waitcnt lgkmcnt(0)
	v_lshrrev_b32_e32 v13, 16, v1
	v_cndmask_b32_e64 v14, v46, v8, s1
	v_med3_i32 v7, v24, 0, 13
	v_lshrrev_b32_e32 v8, 2, v66
	s_or_b32 vcc_lo, s0, vcc_lo
	v_lshrrev_b32_e32 v15, 16, v16
	v_mul_f16_sdwa v19, v54, v13 dst_sel:DWORD dst_unused:UNUSED_PAD src0_sel:WORD_1 src1_sel:DWORD
	v_lshrrev_b32_e32 v5, v7, v6
	v_add_co_ci_u32_e32 v20, vcc_lo, 0, v8, vcc_lo
	v_and_or_b32 v25, 0x8000, v30, v29
	v_fmac_f16_e32 v19, v54, v1
	v_lshlrev_b32_e32 v16, v7, v5
	v_add_co_u32 v7, vcc_lo, v3, s24
	v_add_co_ci_u32_e32 v8, vcc_lo, s26, v4, vcc_lo
	v_cmp_ne_u32_e32 vcc_lo, v16, v6
	v_cvt_f32_f16_e32 v16, v19
	v_and_b32_e32 v25, 0xffff, v25
	v_add_nc_u32_e32 v9, 0xfffffc10, v9
	v_lshrrev_b32_e32 v19, 8, v18
	v_cndmask_b32_e64 v6, 0, 1, vcc_lo
	v_cmp_ne_u32_e32 vcc_lo, 0, v17
	v_bfe_u32 v21, v18, 20, 11
	v_lshl_or_b32 v23, v33, 16, v25
	v_mul_f16_sdwa v1, v54, v1 dst_sel:DWORD dst_unused:UNUSED_PAD src0_sel:WORD_1 src1_sel:DWORD
	v_or_b32_e32 v24, v5, v6
	v_cvt_f64_f32_e32 v[5:6], v16
	v_cndmask_b32_e64 v17, 0, 1, vcc_lo
	v_cmp_ne_u32_e32 vcc_lo, 0, v39
	v_lshl_or_b32 v16, v9, 12, v41
	v_fma_f16 v1, v54, v13, -v1
	v_and_or_b32 v15, 0x8000, v15, v14
	v_and_or_b32 v17, 0xffe, v19, v17
	v_sub_nc_u32_e32 v19, 0x3f1, v21
	v_cndmask_b32_e64 v25, 0, 1, vcc_lo
	v_cmp_gt_i32_e32 vcc_lo, 1, v9
	v_cvt_f32_f16_e32 v1, v1
	global_store_dword v[3:4], v22, off
	v_med3_i32 v19, v19, 0, 13
	v_lshl_or_b32 v25, v25, 9, 0x7c00
	v_cndmask_b32_e32 v16, v16, v24, vcc_lo
	v_or_b32_e32 v24, 0x1000, v17
	v_cmp_gt_i32_e32 vcc_lo, 31, v11
	global_store_dword v[7:8], v23, off
	v_and_b32_e32 v15, 0xffff, v15
	v_and_b32_e32 v26, 7, v16
	v_lshrrev_b32_e32 v27, v19, v24
	v_cndmask_b32_e32 v20, 0x7c00, v20, vcc_lo
	v_cmp_eq_u32_e32 vcc_lo, 0x40f, v11
	v_mul_f64 v[13:14], v[5:6], s[22:23]
	v_cmp_eq_u32_e64 s0, 3, v26
	v_lshlrev_b32_e32 v19, v19, v27
	v_lshrrev_b32_e32 v5, 16, v12
	v_cndmask_b32_e32 v20, v20, v25, vcc_lo
	v_cmp_lt_i32_e32 vcc_lo, 5, v26
	v_cvt_f64_f32_e32 v[11:12], v1
	v_lshrrev_b32_e32 v1, 2, v16
	v_cmp_ne_u32_e64 s1, v19, v24
	v_add_nc_u32_e32 v16, 0xfffffc10, v21
	s_or_b32 vcc_lo, s0, vcc_lo
	v_and_or_b32 v20, 0x8000, v5, v20
	v_add_co_ci_u32_e32 v1, vcc_lo, 0, v1, vcc_lo
	v_cndmask_b32_e64 v6, 0, 1, s1
	v_cmp_ne_u32_e32 vcc_lo, 0, v41
	v_lshl_or_b32 v19, v16, 12, v17
	v_lshl_or_b32 v20, v20, 16, v15
	v_or_b32_e32 v6, v27, v6
	v_cndmask_b32_e64 v21, 0, 1, vcc_lo
	v_cmp_gt_i32_e32 vcc_lo, 1, v16
	v_and_or_b32 v13, 0x1ff, v14, v13
	v_lshrrev_b32_e32 v4, 8, v14
	v_lshl_or_b32 v21, v21, 9, 0x7c00
	v_cndmask_b32_e32 v19, v19, v6, vcc_lo
	ds_read2_b32 v[5:6], v55 offset0:136 offset1:234
	v_cmp_gt_i32_e32 vcc_lo, 31, v9
	v_mul_f64 v[11:12], v[11:12], s[22:23]
	v_cmp_ne_u32_e64 s0, 0, v13
	v_and_b32_e32 v24, 7, v19
	v_lshrrev_b32_e32 v13, 2, v19
	v_cndmask_b32_e32 v1, 0x7c00, v1, vcc_lo
	v_cmp_eq_u32_e32 vcc_lo, 0x40f, v9
	v_cndmask_b32_e64 v3, 0, 1, s0
	v_cmp_eq_u32_e64 s0, 3, v24
	v_lshrrev_b32_e32 v9, 16, v10
	v_bfe_u32 v10, v14, 20, 11
	v_cndmask_b32_e32 v1, v1, v21, vcc_lo
	v_cmp_lt_i32_e32 vcc_lo, 5, v24
	v_and_or_b32 v19, 0xffe, v4, v3
	v_sub_nc_u32_e32 v3, 0x3f1, v10
	v_and_or_b32 v1, 0x8000, v9, v1
	s_or_b32 vcc_lo, s0, vcc_lo
	s_waitcnt lgkmcnt(0)
	v_lshrrev_b32_e32 v21, 16, v5
	v_add_co_ci_u32_e32 v4, vcc_lo, 0, v13, vcc_lo
	v_cmp_ne_u32_e32 vcc_lo, 0, v17
	v_or_b32_e32 v13, 0x1000, v19
	v_mul_f16_sdwa v22, v53, v21 dst_sel:DWORD dst_unused:UNUSED_PAD src0_sel:WORD_1 src1_sel:DWORD
	v_med3_i32 v3, v3, 0, 13
	v_and_or_b32 v11, 0x1ff, v12, v11
	v_cndmask_b32_e64 v17, 0, 1, vcc_lo
	v_cmp_gt_i32_e32 vcc_lo, 31, v16
	v_fmac_f16_e32 v22, v53, v5
	v_lshrrev_b32_e32 v24, v3, v13
	v_bfe_u32 v25, v12, 20, 11
	v_lshl_or_b32 v17, v17, 9, 0x7c00
	v_cndmask_b32_e32 v23, 0x7c00, v4, vcc_lo
	v_cmp_ne_u32_e32 vcc_lo, 0, v11
	v_cvt_f32_f16_e32 v4, v22
	v_lshrrev_b32_e32 v22, 8, v12
	v_lshlrev_b32_e32 v26, v3, v24
	v_sub_nc_u32_e32 v9, 0x3f1, v25
	v_cndmask_b32_e64 v11, 0, 1, vcc_lo
	v_cvt_f64_f32_e32 v[3:4], v4
	v_mul_f16_sdwa v5, v53, v5 dst_sel:DWORD dst_unused:UNUSED_PAD src0_sel:WORD_1 src1_sel:DWORD
	v_cmp_ne_u32_e32 vcc_lo, v26, v13
	v_med3_i32 v9, v9, 0, 13
	v_and_or_b32 v11, 0xffe, v22, v11
	v_add_nc_u32_e32 v22, 0xfffffc10, v10
	v_fma_f16 v5, v53, v21, -v5
	v_cndmask_b32_e64 v13, 0, 1, vcc_lo
	v_cmp_eq_u32_e32 vcc_lo, 0x40f, v16
	v_or_b32_e32 v10, 0x1000, v11
	v_and_b32_e32 v1, 0xffff, v1
	v_cvt_f32_f16_e32 v5, v5
	v_or_b32_e32 v13, v24, v13
	v_cndmask_b32_e32 v16, v23, v17, vcc_lo
	v_lshrrev_b32_e32 v17, 16, v18
	v_lshl_or_b32 v18, v22, 12, v19
	v_lshrrev_b32_e32 v23, v9, v10
	v_cmp_gt_i32_e32 vcc_lo, 1, v22
	v_lshrrev_b32_e32 v12, 16, v12
	v_and_or_b32 v15, 0x8000, v17, v16
	v_add_nc_u32_e32 v17, 0xfffffc10, v25
	v_lshlrev_b32_e32 v9, v9, v23
	v_cndmask_b32_e32 v13, v18, v13, vcc_lo
	v_mul_f64 v[3:4], v[3:4], s[22:23]
	v_add_co_u32 v7, vcc_lo, v7, s21
	v_cmp_ne_u32_e64 s0, v9, v10
	v_and_b32_e32 v16, 7, v13
	v_add_co_ci_u32_e32 v8, vcc_lo, s25, v8, vcc_lo
	v_lshl_or_b32 v1, v15, 16, v1
	v_cndmask_b32_e64 v15, 0, 1, s0
	v_cmp_lt_i32_e32 vcc_lo, 5, v16
	v_cmp_eq_u32_e64 s0, 3, v16
	v_cvt_f64_f32_e32 v[9:10], v5
	v_lshrrev_b32_e32 v5, 2, v13
	v_or_b32_e32 v13, v23, v15
	v_lshl_or_b32 v15, v17, 12, v11
	s_or_b32 vcc_lo, s0, vcc_lo
	v_lshrrev_b32_e32 v23, 16, v14
	v_add_co_ci_u32_e32 v5, vcc_lo, 0, v5, vcc_lo
	v_cmp_ne_u32_e32 vcc_lo, 0, v19
	global_store_dword v[7:8], v20, off
	v_and_or_b32 v3, 0x1ff, v4, v3
	v_lshrrev_b32_e32 v18, 8, v4
	v_cndmask_b32_e64 v16, 0, 1, vcc_lo
	v_cmp_gt_i32_e32 vcc_lo, 1, v17
	v_bfe_u32 v19, v4, 20, 11
	v_lshrrev_b32_e32 v4, 16, v4
	v_cndmask_b32_e32 v13, v15, v13, vcc_lo
	v_cmp_gt_i32_e32 vcc_lo, 31, v22
	v_lshl_or_b32 v15, v16, 9, 0x7c00
	v_mul_f64 v[9:10], v[9:10], s[22:23]
	v_and_b32_e32 v16, 7, v13
	v_cndmask_b32_e32 v5, 0x7c00, v5, vcc_lo
	v_cmp_ne_u32_e32 vcc_lo, 0, v3
	v_lshrrev_b32_e32 v13, 2, v13
	v_cmp_eq_u32_e64 s0, 3, v16
	v_cndmask_b32_e64 v3, 0, 1, vcc_lo
	v_cmp_eq_u32_e32 vcc_lo, 0x40f, v22
	v_and_or_b32 v3, 0xffe, v18, v3
	v_cndmask_b32_e32 v5, v5, v15, vcc_lo
	v_cmp_lt_i32_e32 vcc_lo, 5, v16
	v_lshrrev_b32_e32 v18, 16, v2
	v_sub_nc_u32_e32 v15, 0x3f1, v19
	v_or_b32_e32 v21, 0x1000, v3
	v_add_nc_u32_e32 v19, 0xfffffc10, v19
	s_or_b32 vcc_lo, s0, vcc_lo
	v_mul_f16_sdwa v16, v52, v18 dst_sel:DWORD dst_unused:UNUSED_PAD src0_sel:WORD_1 src1_sel:DWORD
	v_add_co_ci_u32_e32 v13, vcc_lo, 0, v13, vcc_lo
	v_med3_i32 v15, v15, 0, 13
	v_cmp_ne_u32_e32 vcc_lo, 0, v11
	v_fmac_f16_e32 v16, v52, v2
	v_and_or_b32 v9, 0x1ff, v10, v9
	v_and_or_b32 v5, 0x8000, v23, v5
	v_lshrrev_b32_e32 v22, v15, v21
	v_cndmask_b32_e64 v11, 0, 1, vcc_lo
	v_cmp_gt_i32_e32 vcc_lo, 31, v17
	v_cvt_f32_f16_e32 v14, v16
	v_bfe_u32 v23, v10, 20, 11
	v_lshlrev_b32_e32 v25, v15, v22
	v_lshl_or_b32 v11, v11, 9, 0x7c00
	v_cndmask_b32_e32 v24, 0x7c00, v13, vcc_lo
	v_add_co_u32 v15, vcc_lo, v7, s24
	v_cvt_f64_f32_e32 v[13:14], v14
	v_add_co_ci_u32_e32 v16, vcc_lo, s26, v8, vcc_lo
	v_cmp_eq_u32_e32 vcc_lo, 0x40f, v17
	v_lshrrev_b32_e32 v17, 8, v10
	v_mul_f16_sdwa v2, v52, v2 dst_sel:DWORD dst_unused:UNUSED_PAD src0_sel:WORD_1 src1_sel:DWORD
	global_store_dword v[15:16], v1, off
	v_and_b32_e32 v5, 0xffff, v5
	v_cndmask_b32_e32 v11, v24, v11, vcc_lo
	v_cmp_ne_u32_e32 vcc_lo, 0, v9
	v_fma_f16 v2, v52, v18, -v2
	v_lshrrev_b32_e32 v10, 16, v10
	v_and_or_b32 v24, 0x8000, v12, v11
	v_cndmask_b32_e64 v9, 0, 1, vcc_lo
	v_cmp_ne_u32_e32 vcc_lo, v25, v21
	v_cvt_f32_f16_e32 v2, v2
	v_lshl_or_b32 v18, v24, 16, v5
	v_and_or_b32 v9, 0xffe, v17, v9
	v_cndmask_b32_e64 v21, 0, 1, vcc_lo
	v_cmp_gt_i32_e32 vcc_lo, 1, v19
	v_mul_f64 v[11:12], v[13:14], s[22:23]
	v_sub_nc_u32_e32 v17, 0x3f1, v23
	v_or_b32_e32 v25, 0x1000, v9
	v_or_b32_e32 v21, v22, v21
	v_lshl_or_b32 v22, v19, 12, v3
	v_med3_i32 v17, v17, 0, 13
	v_cndmask_b32_e32 v13, v22, v21, vcc_lo
	v_add_co_u32 v7, vcc_lo, v15, s21
	v_lshrrev_b32_e32 v14, v17, v25
	v_add_co_ci_u32_e32 v8, vcc_lo, s25, v16, vcc_lo
	v_and_b32_e32 v1, 7, v13
	v_lshrrev_b32_e32 v13, 2, v13
	v_lshlrev_b32_e32 v5, v17, v14
	v_add_nc_u32_e32 v15, 0xfffffc10, v23
	v_lshrrev_b32_e32 v21, 16, v6
	v_cmp_lt_i32_e32 vcc_lo, 5, v1
	v_cmp_eq_u32_e64 s0, 3, v1
	v_cvt_f64_f32_e32 v[1:2], v2
	v_cmp_ne_u32_e64 s1, v5, v25
	v_and_or_b32 v11, 0x1ff, v12, v11
	v_lshrrev_b32_e32 v16, 8, v12
	s_or_b32 vcc_lo, s0, vcc_lo
	v_bfe_u32 v17, v12, 20, 11
	v_add_co_ci_u32_e32 v13, vcc_lo, 0, v13, vcc_lo
	v_cmp_ne_u32_e32 vcc_lo, 0, v3
	v_cndmask_b32_e64 v5, 0, 1, s1
	v_mul_f16_sdwa v22, v50, v21 dst_sel:DWORD dst_unused:UNUSED_PAD src0_sel:WORD_1 src1_sel:DWORD
	global_store_dword v[7:8], v18, off
	v_lshrrev_b32_e32 v12, 16, v12
	v_cndmask_b32_e64 v3, 0, 1, vcc_lo
	v_cmp_ne_u32_e32 vcc_lo, 0, v11
	v_or_b32_e32 v5, v14, v5
	v_lshl_or_b32 v14, v15, 12, v9
	v_fmac_f16_e32 v22, v50, v6
	v_cndmask_b32_e64 v11, 0, 1, vcc_lo
	v_cmp_gt_i32_e32 vcc_lo, 1, v15
	v_and_or_b32 v11, 0xffe, v16, v11
	v_cndmask_b32_e32 v5, v14, v5, vcc_lo
	v_cmp_gt_i32_e32 vcc_lo, 31, v19
	v_sub_nc_u32_e32 v16, 0x3f1, v17
	v_add_nc_u32_e32 v17, 0xfffffc10, v17
	v_cndmask_b32_e32 v20, 0x7c00, v13, vcc_lo
	v_mul_f64 v[13:14], v[1:2], s[22:23]
	v_lshl_or_b32 v1, v3, 9, 0x7c00
	v_and_b32_e32 v2, 7, v5
	v_cmp_eq_u32_e32 vcc_lo, 0x40f, v19
	v_or_b32_e32 v3, 0x1000, v11
	v_med3_i32 v16, v16, 0, 13
	v_cmp_eq_u32_e64 s0, 3, v2
	v_cndmask_b32_e32 v19, v20, v1, vcc_lo
	v_cmp_lt_i32_e32 vcc_lo, 5, v2
	v_lshrrev_b32_e32 v20, v16, v3
	v_lshrrev_b32_e32 v1, 2, v5
	v_cvt_f32_f16_e32 v2, v22
	v_and_or_b32 v19, 0x8000, v4, v19
	s_or_b32 vcc_lo, s0, vcc_lo
	v_lshlrev_b32_e32 v5, v16, v20
	v_add_co_ci_u32_e32 v16, vcc_lo, 0, v1, vcc_lo
	v_cmp_ne_u32_e32 vcc_lo, 0, v9
	v_cvt_f64_f32_e32 v[1:2], v2
	v_and_or_b32 v13, 0x1ff, v14, v13
	v_cndmask_b32_e64 v9, 0, 1, vcc_lo
	v_cmp_ne_u32_e32 vcc_lo, v5, v3
	v_bfe_u32 v22, v14, 20, 11
	v_lshl_or_b32 v9, v9, 9, 0x7c00
	v_cndmask_b32_e64 v3, 0, 1, vcc_lo
	v_cmp_gt_i32_e32 vcc_lo, 31, v15
	v_sub_nc_u32_e32 v4, 0x3f1, v22
	v_add_nc_u32_e32 v18, 0xfffffc10, v22
	v_or_b32_e32 v3, v20, v3
	v_cndmask_b32_e32 v5, 0x7c00, v16, vcc_lo
	v_cmp_ne_u32_e32 vcc_lo, 0, v13
	v_lshrrev_b32_e32 v16, 8, v14
	v_lshl_or_b32 v20, v17, 12, v11
	v_lshrrev_b32_e32 v14, 16, v14
	v_cndmask_b32_e64 v13, 0, 1, vcc_lo
	v_cmp_gt_i32_e32 vcc_lo, 1, v17
	v_and_or_b32 v13, 0xffe, v16, v13
	v_cndmask_b32_e32 v3, v20, v3, vcc_lo
	v_cmp_eq_u32_e32 vcc_lo, 0x40f, v15
	v_med3_i32 v16, v4, 0, 13
	v_or_b32_e32 v15, 0x1000, v13
	v_and_b32_e32 v20, 7, v3
	v_cndmask_b32_e32 v9, v5, v9, vcc_lo
	v_mul_f64 v[4:5], v[1:2], s[22:23]
	v_mul_f16_sdwa v2, v50, v6 dst_sel:DWORD dst_unused:UNUSED_PAD src0_sel:WORD_1 src1_sel:DWORD
	v_and_b32_e32 v6, 0xffff, v19
	v_lshrrev_b32_e32 v19, v16, v15
	v_and_or_b32 v1, 0x8000, v10, v9
	v_cmp_lt_i32_e32 vcc_lo, 5, v20
	v_fma_f16 v2, v50, v21, -v2
	v_cmp_eq_u32_e64 s0, 3, v20
	v_lshlrev_b32_e32 v9, v16, v19
	v_lshl_or_b32 v1, v1, 16, v6
	v_lshrrev_b32_e32 v6, 2, v3
	v_cvt_f32_f16_e32 v10, v2
	ds_read2_b32 v[2:3], v51 offset0:152 offset1:250
	v_cmp_ne_u32_e64 s1, v9, v15
	s_or_b32 vcc_lo, s0, vcc_lo
	v_lshl_or_b32 v16, v18, 12, v13
	v_add_co_ci_u32_e32 v6, vcc_lo, 0, v6, vcc_lo
	v_cndmask_b32_e64 v15, 0, 1, s1
	v_cmp_ne_u32_e32 vcc_lo, 0, v11
	v_cvt_f64_f32_e32 v[9:10], v10
	v_and_or_b32 v4, 0x1ff, v5, v4
	v_or_b32_e32 v15, v19, v15
	v_cndmask_b32_e64 v11, 0, 1, vcc_lo
	v_cmp_gt_i32_e32 vcc_lo, 1, v18
	v_bfe_u32 v19, v5, 20, 11
	v_lshl_or_b32 v11, v11, 9, 0x7c00
	v_cndmask_b32_e32 v15, v16, v15, vcc_lo
	v_cmp_ne_u32_e32 vcc_lo, 0, v4
	s_waitcnt lgkmcnt(0)
	v_lshrrev_b32_e32 v21, 16, v2
	v_lshrrev_b32_e32 v16, 8, v5
	v_and_b32_e32 v20, 7, v15
	v_cndmask_b32_e64 v4, 0, 1, vcc_lo
	v_cmp_gt_i32_e32 vcc_lo, 31, v17
	v_lshrrev_b32_e32 v15, 2, v15
	v_cmp_eq_u32_e64 s0, 3, v20
	v_and_or_b32 v23, 0xffe, v16, v4
	v_cndmask_b32_e32 v22, 0x7c00, v6, vcc_lo
	v_mul_f16_sdwa v6, v49, v21 dst_sel:DWORD dst_unused:UNUSED_PAD src0_sel:WORD_1 src1_sel:DWORD
	v_cmp_lt_i32_e32 vcc_lo, 5, v20
	v_sub_nc_u32_e32 v4, 0x3f1, v19
	v_mul_f64 v[9:10], v[9:10], s[22:23]
	v_or_b32_e32 v24, 0x1000, v23
	v_fmac_f16_e32 v6, v49, v2
	s_or_b32 vcc_lo, s0, vcc_lo
	v_med3_i32 v4, v4, 0, 13
	v_add_co_ci_u32_e32 v25, vcc_lo, 0, v15, vcc_lo
	v_cvt_f32_f16_e32 v6, v6
	v_mul_f16_sdwa v2, v49, v2 dst_sel:DWORD dst_unused:UNUSED_PAD src0_sel:WORD_1 src1_sel:DWORD
	v_lshrrev_b32_e32 v20, v4, v24
	v_cvt_f64_f32_e32 v[15:16], v6
	v_add_co_u32 v6, vcc_lo, v7, s24
	v_add_co_ci_u32_e32 v7, vcc_lo, s26, v8, vcc_lo
	v_cmp_ne_u32_e32 vcc_lo, 0, v13
	v_lshlrev_b32_e32 v4, v4, v20
	global_store_dword v[6:7], v1, off
	v_fma_f16 v1, v49, v21, -v2
	v_cndmask_b32_e64 v8, 0, 1, vcc_lo
	v_cmp_eq_u32_e32 vcc_lo, 0x40f, v17
	v_and_or_b32 v9, 0x1ff, v10, v9
	v_add_nc_u32_e32 v17, 0xfffffc10, v19
	v_lshrrev_b32_e32 v19, 8, v10
	v_lshl_or_b32 v8, v8, 9, 0x7c00
	v_cndmask_b32_e32 v11, v22, v11, vcc_lo
	v_cmp_gt_i32_e32 vcc_lo, 31, v18
	v_and_or_b32 v11, 0x8000, v12, v11
	v_cndmask_b32_e32 v13, 0x7c00, v25, vcc_lo
	v_cmp_ne_u32_e32 vcc_lo, v4, v24
	v_and_b32_e32 v11, 0xffff, v11
	v_cndmask_b32_e64 v4, 0, 1, vcc_lo
	v_cmp_eq_u32_e32 vcc_lo, 0x40f, v18
	v_or_b32_e32 v4, v20, v4
	v_cndmask_b32_e32 v13, v13, v8, vcc_lo
	v_cmp_ne_u32_e32 vcc_lo, 0, v9
	v_mul_f64 v[8:9], v[15:16], s[22:23]
	v_bfe_u32 v20, v10, 20, 11
	v_lshl_or_b32 v15, v17, 12, v23
	v_lshrrev_b32_e32 v10, 16, v10
	v_cndmask_b32_e64 v18, 0, 1, vcc_lo
	v_cmp_gt_i32_e32 vcc_lo, 1, v17
	v_sub_nc_u32_e32 v12, 0x3f1, v20
	v_and_or_b32 v16, 0xffe, v19, v18
	v_cndmask_b32_e32 v15, v15, v4, vcc_lo
	v_and_or_b32 v4, 0x8000, v14, v13
	v_med3_i32 v12, v12, 0, 13
	v_or_b32_e32 v13, 0x1000, v16
	v_and_b32_e32 v14, 7, v15
	v_lshl_or_b32 v4, v4, 16, v11
	v_lshrrev_b32_e32 v18, v12, v13
	v_cmp_lt_i32_e32 vcc_lo, 5, v14
	v_cmp_eq_u32_e64 s0, 3, v14
	v_and_or_b32 v8, 0x1ff, v9, v8
	v_lshrrev_b32_e32 v14, 2, v15
	v_lshlrev_b32_e32 v11, v12, v18
	v_cvt_f32_f16_e32 v12, v1
	v_add_co_u32 v1, s1, v6, s21
	v_add_co_ci_u32_e64 v2, s1, s25, v7, s1
	v_cmp_ne_u32_e64 s1, 0, v8
	v_cvt_f64_f32_e32 v[6:7], v12
	v_lshrrev_b32_e32 v12, 8, v9
	v_bfe_u32 v15, v9, 20, 11
	s_or_b32 vcc_lo, s0, vcc_lo
	v_cndmask_b32_e64 v8, 0, 1, s1
	v_cmp_ne_u32_e64 s1, v11, v13
	v_add_nc_u32_e32 v13, 0xfffffc10, v20
	v_add_co_ci_u32_e32 v14, vcc_lo, 0, v14, vcc_lo
	v_and_or_b32 v8, 0xffe, v12, v8
	v_cndmask_b32_e64 v11, 0, 1, s1
	v_cmp_gt_i32_e32 vcc_lo, 1, v13
	v_sub_nc_u32_e32 v12, 0x3f1, v15
	v_lshrrev_b32_e32 v20, 16, v0
	v_or_b32_e32 v19, 0x1000, v8
	v_or_b32_e32 v11, v18, v11
	v_lshl_or_b32 v18, v13, 12, v16
	v_med3_i32 v12, v12, 0, 13
	v_mul_f16_sdwa v22, v48, v20 dst_sel:DWORD dst_unused:UNUSED_PAD src0_sel:WORD_1 src1_sel:DWORD
	v_cmp_eq_u32_e64 s1, 0x40f, v17
	v_add_nc_u32_e32 v15, 0xfffffc10, v15
	v_cndmask_b32_e32 v11, v18, v11, vcc_lo
	v_cmp_ne_u32_e32 vcc_lo, 0, v23
	v_mul_f64 v[6:7], v[6:7], s[22:23]
	v_lshrrev_b32_e32 v21, v12, v19
	v_fmac_f16_e32 v22, v48, v0
	v_and_b32_e32 v23, 7, v11
	v_cndmask_b32_e64 v18, 0, 1, vcc_lo
	v_cmp_gt_i32_e32 vcc_lo, 31, v17
	v_lshlrev_b32_e32 v12, v12, v21
	v_cvt_f32_f16_e32 v17, v22
	v_cmp_eq_u32_e64 s0, 3, v23
	v_lshl_or_b32 v18, v18, 9, 0x7c00
	v_cndmask_b32_e32 v14, 0x7c00, v14, vcc_lo
	v_cmp_lt_i32_e32 vcc_lo, 5, v23
	v_mul_f16_sdwa v0, v48, v0 dst_sel:DWORD dst_unused:UNUSED_PAD src0_sel:WORD_1 src1_sel:DWORD
	v_cndmask_b32_e64 v14, v14, v18, s1
	v_lshrrev_b32_e32 v18, 2, v11
	v_cmp_ne_u32_e64 s1, v12, v19
	s_or_b32 vcc_lo, s0, vcc_lo
	v_cvt_f64_f32_e32 v[11:12], v17
	v_fma_f16 v0, v48, v20, -v0
	v_add_co_ci_u32_e32 v17, vcc_lo, 0, v18, vcc_lo
	v_cndmask_b32_e64 v19, 0, 1, s1
	v_cmp_ne_u32_e32 vcc_lo, 0, v16
	v_and_or_b32 v6, 0x1ff, v7, v6
	v_cvt_f32_f16_e32 v0, v0
	v_or_b32_e32 v18, v21, v19
	v_lshl_or_b32 v19, v15, 12, v8
	v_lshrrev_b32_e32 v21, 16, v5
	v_cndmask_b32_e64 v5, 0, 1, vcc_lo
	v_cmp_gt_i32_e32 vcc_lo, 1, v15
	v_and_or_b32 v14, 0x8000, v21, v14
	v_lshl_or_b32 v22, v5, 9, 0x7c00
	v_cndmask_b32_e32 v16, v19, v18, vcc_lo
	v_cmp_ne_u32_e32 vcc_lo, 0, v6
	v_lshrrev_b32_e32 v18, 8, v7
	v_bfe_u32 v19, v7, 20, 11
	v_and_b32_e32 v14, 0xffff, v14
	v_and_b32_e32 v23, 7, v16
	v_cndmask_b32_e64 v6, 0, 1, vcc_lo
	v_cmp_gt_i32_e32 vcc_lo, 31, v13
	v_sub_nc_u32_e32 v24, 0x3f1, v19
	v_add_nc_u32_e32 v19, 0xfffffc10, v19
	v_cmp_eq_u32_e64 s0, 3, v23
	v_and_or_b32 v18, 0xffe, v18, v6
	v_cndmask_b32_e32 v17, 0x7c00, v17, vcc_lo
	v_cmp_eq_u32_e32 vcc_lo, 0x40f, v13
	v_mul_f64 v[5:6], v[11:12], s[22:23]
	v_med3_i32 v13, v24, 0, 13
	v_or_b32_e32 v12, 0x1000, v18
	v_cndmask_b32_e32 v11, v17, v22, vcc_lo
	v_cmp_lt_i32_e32 vcc_lo, 5, v23
	v_lshrrev_b32_e32 v17, v13, v12
	v_and_or_b32 v10, 0x8000, v10, v11
	v_lshrrev_b32_e32 v11, 2, v16
	s_or_b32 vcc_lo, s0, vcc_lo
	v_lshlrev_b32_e32 v13, v13, v17
	v_lshl_or_b32 v16, v10, 16, v14
	v_add_co_ci_u32_e32 v11, vcc_lo, 0, v11, vcc_lo
	v_cmp_ne_u32_e32 vcc_lo, 0, v8
	v_cndmask_b32_e64 v8, 0, 1, vcc_lo
	v_cmp_ne_u32_e32 vcc_lo, v13, v12
	v_and_or_b32 v5, 0x1ff, v6, v5
	v_lshrrev_b32_e32 v14, 8, v6
	v_bfe_u32 v20, v6, 20, 11
	v_lshl_or_b32 v8, v8, 9, 0x7c00
	v_cndmask_b32_e64 v12, 0, 1, vcc_lo
	v_cmp_gt_i32_e32 vcc_lo, 31, v15
	v_lshrrev_b32_e32 v6, 16, v6
	v_or_b32_e32 v12, v17, v12
	v_cndmask_b32_e32 v13, 0x7c00, v11, vcc_lo
	v_cmp_ne_u32_e32 vcc_lo, 0, v5
	v_cvt_f64_f32_e32 v[10:11], v0
	v_lshrrev_b32_e32 v5, 16, v3
	v_lshl_or_b32 v17, v19, 12, v18
	v_cndmask_b32_e64 v0, 0, 1, vcc_lo
	v_cmp_gt_i32_e32 vcc_lo, 1, v19
	v_mul_f16_sdwa v21, v47, v5 dst_sel:DWORD dst_unused:UNUSED_PAD src0_sel:WORD_1 src1_sel:DWORD
	v_and_or_b32 v0, 0xffe, v14, v0
	v_sub_nc_u32_e32 v14, 0x3f1, v20
	v_cndmask_b32_e32 v17, v17, v12, vcc_lo
	v_fmac_f16_e32 v21, v47, v3
	v_cmp_eq_u32_e32 vcc_lo, 0x40f, v15
	v_or_b32_e32 v22, 0x1000, v0
	v_med3_i32 v14, v14, 0, 13
	v_and_b32_e32 v23, 7, v17
	v_cvt_f32_f16_e32 v12, v21
	v_cndmask_b32_e32 v21, v13, v8, vcc_lo
	v_mul_f16_sdwa v3, v47, v3 dst_sel:DWORD dst_unused:UNUSED_PAD src0_sel:WORD_1 src1_sel:DWORD
	v_lshrrev_b32_e32 v8, v14, v22
	v_cmp_lt_i32_e32 vcc_lo, 5, v23
	v_cmp_eq_u32_e64 s0, 3, v23
	v_mul_f64 v[10:11], v[10:11], s[22:23]
	v_lshrrev_b32_e32 v23, 16, v9
	v_lshrrev_b32_e32 v9, 2, v17
	v_lshlrev_b32_e32 v14, v14, v8
	s_or_b32 vcc_lo, s0, vcc_lo
	v_cvt_f64_f32_e32 v[12:13], v12
	v_fma_f16 v3, v47, v5, -v3
	v_add_co_ci_u32_e32 v5, vcc_lo, 0, v9, vcc_lo
	v_cmp_ne_u32_e32 vcc_lo, v14, v22
	v_add_nc_u32_e32 v17, 0xfffffc10, v20
	v_cvt_f32_f16_e32 v3, v3
	v_and_or_b32 v21, 0x8000, v23, v21
	v_cndmask_b32_e64 v9, 0, 1, vcc_lo
	v_cmp_ne_u32_e32 vcc_lo, 0, v18
	v_lshl_or_b32 v20, v17, 12, v0
	v_or_b32_e32 v18, v8, v9
	v_cndmask_b32_e64 v14, 0, 1, vcc_lo
	v_cmp_gt_i32_e32 vcc_lo, 31, v19
	v_cvt_f64_f32_e32 v[8:9], v3
	v_cndmask_b32_e32 v3, 0x7c00, v5, vcc_lo
	v_and_or_b32 v5, 0x1ff, v11, v10
	v_lshl_or_b32 v10, v14, 9, 0x7c00
	v_add_co_u32 v14, vcc_lo, v1, s24
	v_add_co_ci_u32_e32 v15, vcc_lo, s26, v2, vcc_lo
	v_cmp_gt_i32_e32 vcc_lo, 1, v17
	v_mul_f64 v[12:13], v[12:13], s[22:23]
	v_cndmask_b32_e32 v18, v20, v18, vcc_lo
	v_cmp_eq_u32_e32 vcc_lo, 0x40f, v19
	v_bfe_u32 v19, v11, 20, 11
	v_lshrrev_b32_e32 v20, 16, v7
	v_and_b32_e32 v22, 7, v18
	v_cndmask_b32_e32 v3, v3, v10, vcc_lo
	v_cmp_ne_u32_e32 vcc_lo, 0, v5
	v_lshrrev_b32_e32 v10, 8, v11
	v_mul_f64 v[7:8], v[8:9], s[22:23]
	v_cmp_eq_u32_e64 s0, 3, v22
	v_lshrrev_b32_e32 v18, 2, v18
	v_cndmask_b32_e64 v5, 0, 1, vcc_lo
	v_cmp_lt_i32_e32 vcc_lo, 5, v22
	v_and_or_b32 v3, 0x8000, v20, v3
	v_and_b32_e32 v20, 0xffff, v21
	v_lshrrev_b32_e32 v11, 16, v11
	v_and_or_b32 v5, 0xffe, v10, v5
	v_sub_nc_u32_e32 v10, 0x3f1, v19
	v_and_or_b32 v12, 0x1ff, v13, v12
	s_or_b32 vcc_lo, s0, vcc_lo
	v_lshrrev_b32_e32 v22, 8, v13
	v_or_b32_e32 v9, 0x1000, v5
	v_med3_i32 v10, v10, 0, 13
	v_add_co_ci_u32_e32 v18, vcc_lo, 0, v18, vcc_lo
	v_cmp_ne_u32_e32 vcc_lo, 0, v12
	v_bfe_u32 v23, v13, 20, 11
	v_lshrrev_b32_e32 v21, v10, v9
	v_lshl_or_b32 v3, v3, 16, v20
	v_cndmask_b32_e64 v12, 0, 1, vcc_lo
	v_cmp_ne_u32_e32 vcc_lo, 0, v0
	v_lshlrev_b32_e32 v10, v10, v21
	v_and_or_b32 v7, 0x1ff, v8, v7
	v_lshrrev_b32_e32 v24, 8, v8
	v_and_or_b32 v12, 0xffe, v22, v12
	v_cndmask_b32_e64 v0, 0, 1, vcc_lo
	v_cmp_ne_u32_e32 vcc_lo, v10, v9
	v_sub_nc_u32_e32 v22, 0x3f1, v23
	v_add_nc_u32_e32 v10, 0xfffffc10, v19
	v_or_b32_e32 v19, 0x1000, v12
	v_bfe_u32 v25, v8, 20, 11
	v_cndmask_b32_e64 v9, 0, 1, vcc_lo
	v_cmp_gt_i32_e32 vcc_lo, 31, v17
	v_med3_i32 v22, v22, 0, 13
	v_lshl_or_b32 v0, v0, 9, 0x7c00
	v_lshrrev_b32_e32 v8, 16, v8
	v_or_b32_e32 v9, v21, v9
	v_cndmask_b32_e32 v18, 0x7c00, v18, vcc_lo
	v_cmp_ne_u32_e32 vcc_lo, 0, v7
	v_lshl_or_b32 v21, v10, 12, v5
	v_lshrrev_b32_e32 v26, v22, v19
	v_cndmask_b32_e64 v7, 0, 1, vcc_lo
	v_cmp_gt_i32_e32 vcc_lo, 1, v10
	v_and_or_b32 v7, 0xffe, v24, v7
	v_sub_nc_u32_e32 v24, 0x3f1, v25
	v_cndmask_b32_e32 v9, v21, v9, vcc_lo
	v_lshlrev_b32_e32 v21, v22, v26
	v_cmp_eq_u32_e32 vcc_lo, 0x40f, v17
	v_or_b32_e32 v22, 0x1000, v7
	v_med3_i32 v24, v24, 0, 13
	v_and_b32_e32 v27, 7, v9
	v_lshrrev_b32_e32 v9, 2, v9
	v_cndmask_b32_e32 v0, v18, v0, vcc_lo
	v_cmp_ne_u32_e32 vcc_lo, v21, v19
	v_add_nc_u32_e32 v18, 0xfffffc10, v23
	v_lshrrev_b32_e32 v19, v24, v22
	v_cmp_eq_u32_e64 s0, 3, v27
	v_and_or_b32 v0, 0x8000, v6, v0
	v_cndmask_b32_e64 v17, 0, 1, vcc_lo
	v_lshl_or_b32 v21, v18, 12, v12
	v_lshlrev_b32_e32 v23, v24, v19
	v_cmp_gt_i32_e64 s1, 1, v18
	v_cmp_lt_i32_e32 vcc_lo, 5, v27
	v_or_b32_e32 v17, v26, v17
	v_and_b32_e32 v0, 0xffff, v0
	s_or_b32 vcc_lo, s0, vcc_lo
	v_cndmask_b32_e64 v17, v21, v17, s1
	v_cmp_ne_u32_e64 s1, v23, v22
	v_add_nc_u32_e32 v22, 0xfffffc10, v25
	v_add_co_ci_u32_e32 v9, vcc_lo, 0, v9, vcc_lo
	v_and_b32_e32 v23, 7, v17
	v_cndmask_b32_e64 v21, 0, 1, s1
	v_cmp_ne_u32_e32 vcc_lo, 0, v5
	v_cmp_gt_i32_e64 s0, 1, v22
	v_lshrrev_b32_e32 v17, 2, v17
	v_cmp_gt_i32_e64 s1, 31, v10
	v_or_b32_e32 v19, v19, v21
	v_lshl_or_b32 v21, v22, 12, v7
	v_cndmask_b32_e64 v5, 0, 1, vcc_lo
	v_cmp_lt_i32_e32 vcc_lo, 5, v23
	v_cndmask_b32_e64 v9, 0x7c00, v9, s1
	v_cmp_eq_u32_e64 s1, 0x40f, v10
	v_cndmask_b32_e64 v6, v21, v19, s0
	v_cmp_eq_u32_e64 s0, 3, v23
	v_lshl_or_b32 v5, v5, 9, 0x7c00
	v_and_b32_e32 v19, 7, v6
	s_or_b32 vcc_lo, s0, vcc_lo
	v_lshrrev_b32_e32 v6, 2, v6
	v_add_co_ci_u32_e32 v17, vcc_lo, 0, v17, vcc_lo
	v_cmp_ne_u32_e32 vcc_lo, 0, v12
	v_cmp_eq_u32_e64 s0, 3, v19
	v_cndmask_b32_e64 v5, v9, v5, s1
	v_cmp_gt_i32_e64 s1, 31, v18
	v_cndmask_b32_e64 v12, 0, 1, vcc_lo
	v_cmp_lt_i32_e32 vcc_lo, 5, v19
	v_and_or_b32 v11, 0x8000, v11, v5
	v_cndmask_b32_e64 v9, 0x7c00, v17, s1
	v_lshl_or_b32 v10, v12, 9, 0x7c00
	s_or_b32 vcc_lo, s0, vcc_lo
	v_lshl_or_b32 v0, v11, 16, v0
	v_add_co_ci_u32_e32 v6, vcc_lo, 0, v6, vcc_lo
	v_cmp_ne_u32_e32 vcc_lo, 0, v7
	v_cndmask_b32_e64 v7, 0, 1, vcc_lo
	v_cmp_eq_u32_e32 vcc_lo, 0x40f, v18
	v_lshl_or_b32 v7, v7, 9, 0x7c00
	v_cndmask_b32_e32 v9, v9, v10, vcc_lo
	v_cmp_gt_i32_e32 vcc_lo, 31, v22
	v_lshrrev_b32_e32 v10, 16, v13
	v_cndmask_b32_e32 v6, 0x7c00, v6, vcc_lo
	v_cmp_eq_u32_e32 vcc_lo, 0x40f, v22
	v_and_or_b32 v9, 0x8000, v10, v9
	v_cndmask_b32_e32 v7, v6, v7, vcc_lo
	v_add_co_u32 v5, vcc_lo, v14, s21
	v_add_co_ci_u32_e32 v6, vcc_lo, s25, v15, vcc_lo
	v_and_or_b32 v10, 0x8000, v8, v7
	v_and_b32_e32 v9, 0xffff, v9
	v_add_co_u32 v7, vcc_lo, v5, s24
	v_add_co_ci_u32_e32 v8, vcc_lo, s26, v6, vcc_lo
	v_lshl_or_b32 v11, v10, 16, v9
	v_add_co_u32 v9, vcc_lo, v7, s21
	v_add_co_ci_u32_e32 v10, vcc_lo, s25, v8, vcc_lo
	global_store_dword v[1:2], v4, off
	global_store_dword v[14:15], v16, off
	;; [unrolled: 1-line block ×5, first 2 shown]
.LBB0_2:
	s_endpgm
	.section	.rodata,"a",@progbits
	.p2align	6, 0x0
	.amdhsa_kernel bluestein_single_fwd_len1372_dim1_half_op_CI_CI
		.amdhsa_group_segment_fixed_size 10976
		.amdhsa_private_segment_fixed_size 0
		.amdhsa_kernarg_size 104
		.amdhsa_user_sgpr_count 6
		.amdhsa_user_sgpr_private_segment_buffer 1
		.amdhsa_user_sgpr_dispatch_ptr 0
		.amdhsa_user_sgpr_queue_ptr 0
		.amdhsa_user_sgpr_kernarg_segment_ptr 1
		.amdhsa_user_sgpr_dispatch_id 0
		.amdhsa_user_sgpr_flat_scratch_init 0
		.amdhsa_user_sgpr_private_segment_size 0
		.amdhsa_wavefront_size32 1
		.amdhsa_uses_dynamic_stack 0
		.amdhsa_system_sgpr_private_segment_wavefront_offset 0
		.amdhsa_system_sgpr_workgroup_id_x 1
		.amdhsa_system_sgpr_workgroup_id_y 0
		.amdhsa_system_sgpr_workgroup_id_z 0
		.amdhsa_system_sgpr_workgroup_info 0
		.amdhsa_system_vgpr_workitem_id 0
		.amdhsa_next_free_vgpr 123
		.amdhsa_next_free_sgpr 27
		.amdhsa_reserve_vcc 1
		.amdhsa_reserve_flat_scratch 0
		.amdhsa_float_round_mode_32 0
		.amdhsa_float_round_mode_16_64 0
		.amdhsa_float_denorm_mode_32 3
		.amdhsa_float_denorm_mode_16_64 3
		.amdhsa_dx10_clamp 1
		.amdhsa_ieee_mode 1
		.amdhsa_fp16_overflow 0
		.amdhsa_workgroup_processor_mode 1
		.amdhsa_memory_ordered 1
		.amdhsa_forward_progress 0
		.amdhsa_shared_vgpr_count 0
		.amdhsa_exception_fp_ieee_invalid_op 0
		.amdhsa_exception_fp_denorm_src 0
		.amdhsa_exception_fp_ieee_div_zero 0
		.amdhsa_exception_fp_ieee_overflow 0
		.amdhsa_exception_fp_ieee_underflow 0
		.amdhsa_exception_fp_ieee_inexact 0
		.amdhsa_exception_int_div_zero 0
	.end_amdhsa_kernel
	.text
.Lfunc_end0:
	.size	bluestein_single_fwd_len1372_dim1_half_op_CI_CI, .Lfunc_end0-bluestein_single_fwd_len1372_dim1_half_op_CI_CI
                                        ; -- End function
	.section	.AMDGPU.csdata,"",@progbits
; Kernel info:
; codeLenInByte = 22184
; NumSgprs: 29
; NumVgprs: 123
; ScratchSize: 0
; MemoryBound: 0
; FloatMode: 240
; IeeeMode: 1
; LDSByteSize: 10976 bytes/workgroup (compile time only)
; SGPRBlocks: 3
; VGPRBlocks: 15
; NumSGPRsForWavesPerEU: 29
; NumVGPRsForWavesPerEU: 123
; Occupancy: 8
; WaveLimiterHint : 1
; COMPUTE_PGM_RSRC2:SCRATCH_EN: 0
; COMPUTE_PGM_RSRC2:USER_SGPR: 6
; COMPUTE_PGM_RSRC2:TRAP_HANDLER: 0
; COMPUTE_PGM_RSRC2:TGID_X_EN: 1
; COMPUTE_PGM_RSRC2:TGID_Y_EN: 0
; COMPUTE_PGM_RSRC2:TGID_Z_EN: 0
; COMPUTE_PGM_RSRC2:TIDIG_COMP_CNT: 0
	.text
	.p2alignl 6, 3214868480
	.fill 48, 4, 3214868480
	.type	__hip_cuid_d71625c5ca88e83,@object ; @__hip_cuid_d71625c5ca88e83
	.section	.bss,"aw",@nobits
	.globl	__hip_cuid_d71625c5ca88e83
__hip_cuid_d71625c5ca88e83:
	.byte	0                               ; 0x0
	.size	__hip_cuid_d71625c5ca88e83, 1

	.ident	"AMD clang version 19.0.0git (https://github.com/RadeonOpenCompute/llvm-project roc-6.4.0 25133 c7fe45cf4b819c5991fe208aaa96edf142730f1d)"
	.section	".note.GNU-stack","",@progbits
	.addrsig
	.addrsig_sym __hip_cuid_d71625c5ca88e83
	.amdgpu_metadata
---
amdhsa.kernels:
  - .args:
      - .actual_access:  read_only
        .address_space:  global
        .offset:         0
        .size:           8
        .value_kind:     global_buffer
      - .actual_access:  read_only
        .address_space:  global
        .offset:         8
        .size:           8
        .value_kind:     global_buffer
      - .actual_access:  read_only
        .address_space:  global
        .offset:         16
        .size:           8
        .value_kind:     global_buffer
      - .actual_access:  read_only
        .address_space:  global
        .offset:         24
        .size:           8
        .value_kind:     global_buffer
      - .actual_access:  read_only
        .address_space:  global
        .offset:         32
        .size:           8
        .value_kind:     global_buffer
      - .offset:         40
        .size:           8
        .value_kind:     by_value
      - .address_space:  global
        .offset:         48
        .size:           8
        .value_kind:     global_buffer
      - .address_space:  global
        .offset:         56
        .size:           8
        .value_kind:     global_buffer
      - .address_space:  global
        .offset:         64
        .size:           8
        .value_kind:     global_buffer
      - .address_space:  global
        .offset:         72
        .size:           8
        .value_kind:     global_buffer
      - .offset:         80
        .size:           4
        .value_kind:     by_value
      - .address_space:  global
        .offset:         88
        .size:           8
        .value_kind:     global_buffer
      - .address_space:  global
        .offset:         96
        .size:           8
        .value_kind:     global_buffer
    .group_segment_fixed_size: 10976
    .kernarg_segment_align: 8
    .kernarg_segment_size: 104
    .language:       OpenCL C
    .language_version:
      - 2
      - 0
    .max_flat_workgroup_size: 196
    .name:           bluestein_single_fwd_len1372_dim1_half_op_CI_CI
    .private_segment_fixed_size: 0
    .sgpr_count:     29
    .sgpr_spill_count: 0
    .symbol:         bluestein_single_fwd_len1372_dim1_half_op_CI_CI.kd
    .uniform_work_group_size: 1
    .uses_dynamic_stack: false
    .vgpr_count:     123
    .vgpr_spill_count: 0
    .wavefront_size: 32
    .workgroup_processor_mode: 1
amdhsa.target:   amdgcn-amd-amdhsa--gfx1030
amdhsa.version:
  - 1
  - 2
...

	.end_amdgpu_metadata
